;; amdgpu-corpus repo=ROCm/rocFFT kind=compiled arch=gfx1030 opt=O3
	.text
	.amdgcn_target "amdgcn-amd-amdhsa--gfx1030"
	.amdhsa_code_object_version 6
	.protected	bluestein_single_fwd_len1190_dim1_sp_op_CI_CI ; -- Begin function bluestein_single_fwd_len1190_dim1_sp_op_CI_CI
	.globl	bluestein_single_fwd_len1190_dim1_sp_op_CI_CI
	.p2align	8
	.type	bluestein_single_fwd_len1190_dim1_sp_op_CI_CI,@function
bluestein_single_fwd_len1190_dim1_sp_op_CI_CI: ; @bluestein_single_fwd_len1190_dim1_sp_op_CI_CI
; %bb.0:
	s_load_dwordx4 s[0:3], s[4:5], 0x28
	v_mul_u32_u24_e32 v1, 0x304, v0
	v_lshrrev_b32_e32 v1, 16, v1
	v_mad_u64_u32 v[80:81], null, s6, 3, v[1:2]
	v_mov_b32_e32 v81, 0
                                        ; kill: def $vgpr2 killed $sgpr0 killed $exec
	s_waitcnt lgkmcnt(0)
	v_cmp_gt_u64_e32 vcc_lo, s[0:1], v[80:81]
	s_and_saveexec_b32 s0, vcc_lo
	s_cbranch_execz .LBB0_23
; %bb.1:
	v_mul_hi_u32 v2, 0xaaaaaaab, v80
	s_clause 0x1
	s_load_dwordx2 s[12:13], s[4:5], 0x0
	s_load_dwordx2 s[14:15], s[4:5], 0x38
	v_mul_lo_u16 v1, 0x55, v1
	v_sub_nc_u16 v0, v0, v1
	v_lshrrev_b32_e32 v2, 1, v2
	v_and_b32_e32 v116, 0xffff, v0
	v_lshl_add_u32 v2, v2, 1, v2
	v_cmp_gt_u16_e32 vcc_lo, 0x46, v0
	v_lshlrev_b32_e32 v115, 3, v116
	v_sub_nc_u32_e32 v1, v80, v2
	v_mul_u32_u24_e32 v58, 0x4a6, v1
	v_lshlrev_b32_e32 v117, 3, v58
	s_and_saveexec_b32 s1, vcc_lo
	s_cbranch_execz .LBB0_3
; %bb.2:
	s_load_dwordx2 s[6:7], s[4:5], 0x18
	s_waitcnt lgkmcnt(0)
	v_add_co_u32 v20, s0, s12, v115
	v_add_co_ci_u32_e64 v21, null, s13, 0, s0
	v_add_nc_u32_e32 v71, v117, v115
	v_add_co_u32 v12, s0, 0x800, v20
	v_add_co_ci_u32_e64 v13, s0, 0, v21, s0
	v_lshl_add_u32 v72, v116, 3, v117
	v_add_nc_u32_e32 v73, 0x400, v71
	v_add_nc_u32_e32 v74, 0x800, v71
	;; [unrolled: 1-line block ×5, first 2 shown]
	s_load_dwordx4 s[8:11], s[6:7], 0x0
	s_clause 0x7
	global_load_dwordx2 v[4:5], v115, s[12:13]
	global_load_dwordx2 v[6:7], v115, s[12:13] offset:560
	global_load_dwordx2 v[8:9], v115, s[12:13] offset:1120
	;; [unrolled: 1-line block ×3, first 2 shown]
	global_load_dwordx2 v[22:23], v[12:13], off offset:192
	global_load_dwordx2 v[24:25], v[12:13], off offset:752
	;; [unrolled: 1-line block ×4, first 2 shown]
	s_waitcnt lgkmcnt(0)
	v_mad_u64_u32 v[0:1], null, s10, v80, 0
	v_mad_u64_u32 v[2:3], null, s8, v116, 0
	s_mul_i32 s6, s9, 0x230
	s_mul_hi_u32 s7, s8, 0x230
	s_add_i32 s7, s7, s6
	v_mad_u64_u32 v[14:15], null, s11, v80, v[1:2]
	v_add_co_u32 v15, s0, 0x1000, v20
	v_add_co_ci_u32_e64 v16, s0, 0, v21, s0
	v_mov_b32_e32 v1, v14
	s_clause 0x2
	global_load_dwordx2 v[28:29], v[15:16], off offset:384
	global_load_dwordx2 v[30:31], v[15:16], off offset:944
	;; [unrolled: 1-line block ×3, first 2 shown]
	v_lshlrev_b64 v[0:1], 3, v[0:1]
	s_waitcnt vmcnt(10)
	v_mad_u64_u32 v[17:18], null, s9, v116, v[3:4]
	v_add_co_u32 v18, s0, 0x1800, v20
	v_add_co_ci_u32_e64 v19, s0, 0, v21, s0
	v_add_co_u32 v20, s0, 0x2000, v20
	v_mov_b32_e32 v3, v17
	v_add_co_ci_u32_e64 v21, s0, 0, v21, s0
	v_add_co_u32 v0, s0, s2, v0
	v_lshlrev_b64 v[2:3], 3, v[2:3]
	v_add_co_ci_u32_e64 v1, s0, s3, v1, s0
	s_mul_i32 s2, s8, 0x230
	s_clause 0x3
	global_load_dwordx2 v[32:33], v[18:19], off offset:16
	global_load_dwordx2 v[34:35], v[18:19], off offset:576
	;; [unrolled: 1-line block ×4, first 2 shown]
	v_add_co_u32 v0, s0, v0, v2
	v_add_co_ci_u32_e64 v1, s0, v1, v3, s0
	v_add_co_u32 v2, s0, v0, s2
	v_add_co_ci_u32_e64 v3, s0, s7, v1, s0
	global_load_dwordx2 v[0:1], v[0:1], off
	v_add_co_u32 v16, s0, v2, s2
	v_add_co_ci_u32_e64 v17, s0, s7, v3, s0
	v_add_co_u32 v38, s0, v16, s2
	v_add_co_ci_u32_e64 v39, s0, s7, v17, s0
	;; [unrolled: 2-line block ×3, first 2 shown]
	s_clause 0x2
	global_load_dwordx2 v[2:3], v[2:3], off
	global_load_dwordx2 v[16:17], v[16:17], off
	;; [unrolled: 1-line block ×3, first 2 shown]
	v_add_co_u32 v42, s0, v40, s2
	v_add_co_ci_u32_e64 v43, s0, s7, v41, s0
	global_load_dwordx2 v[40:41], v[40:41], off
	v_add_co_u32 v44, s0, v42, s2
	v_add_co_ci_u32_e64 v45, s0, s7, v43, s0
	global_load_dwordx2 v[42:43], v[42:43], off
	;; [unrolled: 3-line block ×12, first 2 shown]
	s_clause 0x1
	global_load_dwordx2 v[67:68], v[20:21], off offset:208
	global_load_dwordx2 v[20:21], v[20:21], off offset:768
	global_load_dwordx2 v[65:66], v[65:66], off
	s_waitcnt vmcnt(18)
	v_mul_f32_e32 v69, v1, v5
	v_mul_f32_e32 v5, v0, v5
	v_fmac_f32_e32 v69, v0, v4
	v_fma_f32 v70, v1, v4, -v5
	ds_write_b64 v72, v[69:70]
	s_waitcnt vmcnt(17)
	v_mul_f32_e32 v0, v3, v7
	v_mul_f32_e32 v1, v2, v7
	s_waitcnt vmcnt(15)
	v_mul_f32_e32 v4, v39, v11
	v_mul_f32_e32 v5, v38, v11
	v_fmac_f32_e32 v0, v2, v6
	v_mul_f32_e32 v2, v17, v9
	v_fma_f32 v1, v3, v6, -v1
	v_mul_f32_e32 v3, v16, v9
	s_waitcnt vmcnt(14)
	v_mul_f32_e32 v6, v41, v23
	v_mul_f32_e32 v7, v40, v23
	v_fmac_f32_e32 v2, v16, v8
	v_fmac_f32_e32 v4, v38, v10
	v_fma_f32 v3, v17, v8, -v3
	v_fma_f32 v5, v39, v10, -v5
	s_waitcnt vmcnt(13)
	v_mul_f32_e32 v8, v43, v25
	v_mul_f32_e32 v9, v42, v25
	s_waitcnt vmcnt(12)
	v_mul_f32_e32 v10, v45, v27
	v_mul_f32_e32 v11, v44, v27
	v_fmac_f32_e32 v6, v40, v22
	v_fma_f32 v7, v41, v22, -v7
	v_fmac_f32_e32 v8, v42, v24
	v_fma_f32 v9, v43, v24, -v9
	;; [unrolled: 2-line block ×3, first 2 shown]
	ds_write2_b64 v71, v[0:1], v[2:3] offset0:70 offset1:140
	ds_write2_b64 v73, v[4:5], v[6:7] offset0:82 offset1:152
	s_waitcnt vmcnt(11)
	v_mul_f32_e32 v0, v47, v13
	v_mul_f32_e32 v1, v46, v13
	s_waitcnt vmcnt(10)
	v_mul_f32_e32 v2, v49, v29
	v_mul_f32_e32 v3, v48, v29
	ds_write2_b64 v74, v[8:9], v[10:11] offset0:94 offset1:164
	v_fmac_f32_e32 v0, v46, v12
	s_waitcnt vmcnt(9)
	v_mul_f32_e32 v4, v51, v31
	v_mul_f32_e32 v5, v50, v31
	v_fma_f32 v1, v47, v12, -v1
	v_fmac_f32_e32 v2, v48, v28
	v_fma_f32 v3, v49, v28, -v3
	s_waitcnt vmcnt(8)
	v_mul_f32_e32 v6, v53, v15
	v_mul_f32_e32 v7, v52, v15
	v_fmac_f32_e32 v4, v50, v30
	v_fma_f32 v5, v51, v30, -v5
	s_waitcnt vmcnt(7)
	v_mul_f32_e32 v8, v55, v33
	v_mul_f32_e32 v9, v54, v33
	;; [unrolled: 5-line block ×5, first 2 shown]
	v_fmac_f32_e32 v12, v59, v36
	s_waitcnt vmcnt(2)
	v_mul_f32_e32 v16, v64, v68
	v_mul_f32_e32 v17, v63, v68
	s_waitcnt vmcnt(0)
	v_mul_f32_e32 v19, v66, v21
	v_mul_f32_e32 v21, v65, v21
	v_fma_f32 v13, v60, v36, -v13
	v_fmac_f32_e32 v14, v61, v18
	v_fma_f32 v15, v62, v18, -v15
	v_fmac_f32_e32 v16, v63, v67
	;; [unrolled: 2-line block ×3, first 2 shown]
	v_fma_f32 v20, v66, v20, -v21
	v_add_nc_u32_e32 v18, 0x2000, v71
	ds_write2_b64 v75, v[0:1], v[2:3] offset0:106 offset1:176
	ds_write2_b64 v76, v[4:5], v[6:7] offset0:118 offset1:188
	;; [unrolled: 1-line block ×5, first 2 shown]
.LBB0_3:
	s_or_b32 exec_lo, exec_lo, s1
	s_clause 0x1
	s_load_dwordx2 s[0:1], s[4:5], 0x20
	s_load_dwordx2 s[2:3], s[4:5], 0x8
	v_mov_b32_e32 v4, 0
	v_mov_b32_e32 v5, 0
	s_waitcnt lgkmcnt(0)
	s_barrier
	buffer_gl0_inv
                                        ; implicit-def: $vgpr14
                                        ; implicit-def: $vgpr8
                                        ; implicit-def: $vgpr36
                                        ; implicit-def: $vgpr18
                                        ; implicit-def: $vgpr22
                                        ; implicit-def: $vgpr26
                                        ; implicit-def: $vgpr30
                                        ; implicit-def: $vgpr34
	s_and_saveexec_b32 s4, vcc_lo
	s_cbranch_execz .LBB0_5
; %bb.4:
	v_lshl_add_u32 v0, v58, 3, v115
	ds_read2_b64 v[4:7], v0 offset1:70
	ds_read2_b64 v[32:35], v0 offset0:140 offset1:210
	v_add_nc_u32_e32 v1, 0x800, v0
	v_add_nc_u32_e32 v2, 0x1000, v0
	;; [unrolled: 1-line block ×5, first 2 shown]
	ds_read2_b64 v[28:31], v1 offset0:24 offset1:94
	ds_read2_b64 v[24:27], v1 offset0:164 offset1:234
	;; [unrolled: 1-line block ×6, first 2 shown]
	ds_read_b64 v[36:37], v0 offset:8960
.LBB0_5:
	s_or_b32 exec_lo, exec_lo, s4
	s_waitcnt lgkmcnt(0)
	v_sub_f32_e32 v70, v7, v37
	v_sub_f32_e32 v82, v6, v36
	v_add_f32_e32 v42, v36, v6
	v_sub_f32_e32 v77, v33, v11
	v_add_f32_e32 v43, v37, v7
	v_mul_f32_e32 v48, 0xbeb8f4ab, v70
	v_mul_f32_e32 v61, 0xbf2c7751, v70
	;; [unrolled: 1-line block ×4, first 2 shown]
	v_sub_f32_e32 v87, v32, v10
	v_fmamk_f32 v0, v42, 0x3f6eb680, v48
	v_fmamk_f32 v2, v42, 0x3f3d2fb0, v61
	v_add_f32_e32 v44, v10, v32
	v_mul_f32_e32 v52, 0xbf2c7751, v77
	v_mul_f32_e32 v69, 0xbf7ee86f, v77
	;; [unrolled: 1-line block ×3, first 2 shown]
	v_fma_f32 v3, 0x3f3d2fb0, v43, -v66
	v_add_f32_e32 v0, v0, v4
	v_add_f32_e32 v2, v2, v4
	v_fmamk_f32 v38, v42, 0x3ee437d1, v96
	v_add_f32_e32 v45, v11, v33
	v_mul_f32_e32 v74, 0xbf7ee86f, v87
	v_fmamk_f32 v40, v44, 0x3f3d2fb0, v52
	v_fmamk_f32 v46, v44, 0x3dbcf732, v69
	v_mul_f32_e32 v107, 0xbf4c4adb, v77
	v_sub_f32_e32 v85, v35, v9
	v_fma_f32 v1, 0x3f6eb680, v43, -v51
	v_add_f32_e32 v3, v3, v5
	v_mul_f32_e32 v106, 0xbf65296c, v82
	v_add_f32_e32 v38, v38, v4
	v_mul_f32_e32 v55, 0xbf2c7751, v87
	v_fma_f32 v47, 0x3dbcf732, v45, -v74
	v_add_f32_e32 v0, v40, v0
	v_add_f32_e32 v2, v46, v2
	v_fmamk_f32 v40, v44, 0xbf1a4643, v107
	v_add_f32_e32 v46, v8, v34
	v_sub_f32_e32 v95, v34, v8
	v_mul_f32_e32 v59, 0xbf65296c, v85
	v_add_f32_e32 v1, v1, v5
	v_fma_f32 v39, 0x3ee437d1, v43, -v106
	v_fma_f32 v41, 0x3f3d2fb0, v45, -v55
	v_add_f32_e32 v3, v47, v3
	v_mul_f32_e32 v113, 0xbf4c4adb, v87
	v_add_f32_e32 v38, v40, v38
	v_add_f32_e32 v47, v9, v35
	v_fmamk_f32 v40, v46, 0x3ee437d1, v59
	v_mul_f32_e32 v76, 0xbf4c4adb, v85
	v_mul_f32_e32 v78, 0xbf4c4adb, v95
	v_add_f32_e32 v39, v39, v5
	v_add_f32_e32 v1, v41, v1
	v_fma_f32 v41, 0xbf1a4643, v45, -v113
	v_add_f32_e32 v0, v40, v0
	v_fmamk_f32 v40, v46, 0xbf1a4643, v76
	v_fma_f32 v49, 0xbf1a4643, v47, -v78
	v_mul_f32_e32 v114, 0x3e3c28d5, v95
	v_sub_f32_e32 v91, v29, v15
	v_add_f32_e32 v39, v41, v39
	v_add_f32_e32 v2, v40, v2
	;; [unrolled: 1-line block ×3, first 2 shown]
	v_fma_f32 v40, 0xbf7ba420, v47, -v114
	v_sub_f32_e32 v101, v28, v14
	v_add_f32_e32 v49, v14, v28
	v_mul_f32_e32 v64, 0xbf7ee86f, v91
	v_mul_f32_e32 v63, 0xbf65296c, v95
	v_add_f32_e32 v39, v40, v39
	v_add_f32_e32 v50, v15, v29
	v_mul_f32_e32 v83, 0xbe3c28d5, v91
	v_fmamk_f32 v40, v49, 0x3dbcf732, v64
	v_mul_f32_e32 v84, 0xbe3c28d5, v101
	v_fma_f32 v41, 0x3ee437d1, v47, -v63
	v_mul_f32_e32 v111, 0x3e3c28d5, v85
	v_fmamk_f32 v53, v49, 0xbf7ba420, v83
	v_add_f32_e32 v0, v40, v0
	v_fma_f32 v40, 0xbf7ba420, v50, -v84
	v_mul_f32_e32 v120, 0x3f763a35, v101
	v_sub_f32_e32 v98, v31, v13
	v_add_f32_e32 v1, v41, v1
	v_fmamk_f32 v41, v46, 0xbf7ba420, v111
	v_mul_f32_e32 v118, 0x3f763a35, v91
	v_add_f32_e32 v2, v53, v2
	v_add_f32_e32 v3, v40, v3
	v_fma_f32 v40, 0xbe8c1d8e, v50, -v120
	v_add_f32_e32 v53, v12, v30
	v_mul_f32_e32 v72, 0xbf763a35, v98
	v_add_f32_e32 v38, v41, v38
	v_fmamk_f32 v54, v49, 0xbe8c1d8e, v118
	v_sub_f32_e32 v109, v30, v12
	v_add_f32_e32 v39, v40, v39
	v_fmamk_f32 v40, v53, 0xbe8c1d8e, v72
	v_mul_f32_e32 v121, 0x3f2c7751, v98
	v_mul_f32_e32 v68, 0xbf7ee86f, v101
	v_add_f32_e32 v38, v54, v38
	v_add_f32_e32 v54, v13, v31
	v_mul_f32_e32 v90, 0x3f06c442, v109
	v_add_f32_e32 v0, v40, v0
	v_fmamk_f32 v40, v53, 0x3f3d2fb0, v121
	v_mul_f32_e32 v123, 0x3f2c7751, v109
	v_sub_f32_e32 v112, v24, v18
	v_fma_f32 v41, 0x3dbcf732, v50, -v68
	v_mul_f32_e32 v75, 0xbf763a35, v109
	v_mul_f32_e32 v89, 0x3f06c442, v98
	v_fma_f32 v57, 0xbf59a7d5, v54, -v90
	v_sub_f32_e32 v102, v25, v19
	v_add_f32_e32 v38, v40, v38
	v_add_f32_e32 v62, v19, v25
	v_fma_f32 v40, 0x3f3d2fb0, v54, -v123
	v_mul_f32_e32 v97, 0x3f763a35, v112
	v_add_f32_e32 v1, v41, v1
	v_fma_f32 v41, 0xbe8c1d8e, v54, -v75
	v_fmamk_f32 v56, v53, 0xbf59a7d5, v89
	v_add_f32_e32 v3, v57, v3
	v_add_f32_e32 v60, v18, v24
	v_mul_f32_e32 v79, 0xbf4c4adb, v102
	v_mul_f32_e32 v94, 0x3f763a35, v102
	v_add_f32_e32 v39, v40, v39
	v_fma_f32 v40, 0xbe8c1d8e, v62, -v97
	v_mul_f32_e32 v122, 0xbeb8f4ab, v102
	v_sub_f32_e32 v103, v27, v17
	v_add_f32_e32 v1, v41, v1
	v_add_f32_e32 v2, v56, v2
	v_mul_f32_e32 v81, 0xbf4c4adb, v112
	v_fmamk_f32 v41, v60, 0xbf1a4643, v79
	v_fmamk_f32 v57, v60, 0xbe8c1d8e, v94
	v_add_f32_e32 v3, v40, v3
	v_sub_f32_e32 v119, v26, v16
	v_fmamk_f32 v40, v60, 0x3f6eb680, v122
	v_add_f32_e32 v65, v16, v26
	v_mul_f32_e32 v86, 0xbf06c442, v103
	v_mul_f32_e32 v99, 0x3f65296c, v103
	v_fma_f32 v56, 0xbf1a4643, v62, -v81
	v_add_f32_e32 v0, v41, v0
	v_add_f32_e32 v2, v57, v2
	v_mul_f32_e32 v125, 0xbeb8f4ab, v112
	v_add_f32_e32 v67, v17, v27
	v_mul_f32_e32 v88, 0xbf06c442, v119
	v_add_f32_e32 v38, v40, v38
	v_fmamk_f32 v40, v65, 0xbf59a7d5, v86
	v_fmamk_f32 v57, v65, 0x3ee437d1, v99
	v_mul_f32_e32 v108, 0x3f65296c, v119
	v_sub_f32_e32 v100, v21, v23
	v_add_f32_e32 v1, v56, v1
	v_fma_f32 v41, 0x3f6eb680, v62, -v125
	v_fma_f32 v56, 0xbf59a7d5, v67, -v88
	v_add_f32_e32 v0, v40, v0
	v_add_f32_e32 v40, v57, v2
	v_mul_f32_e32 v124, 0xbf7ee86f, v103
	v_fma_f32 v2, 0x3ee437d1, v67, -v108
	v_mul_f32_e32 v127, 0xbf7ee86f, v119
	v_sub_f32_e32 v105, v20, v22
	v_add_f32_e32 v71, v22, v20
	v_mul_f32_e32 v92, 0xbe3c28d5, v100
	v_add_f32_e32 v39, v41, v39
	v_add_f32_e32 v1, v56, v1
	v_fmamk_f32 v41, v65, 0x3dbcf732, v124
	v_add_f32_e32 v73, v23, v21
	v_mul_f32_e32 v93, 0xbe3c28d5, v105
	v_add_f32_e32 v56, v2, v3
	v_fma_f32 v2, 0x3dbcf732, v67, -v127
	v_fmamk_f32 v3, v71, 0xbf7ba420, v92
	v_mul_f32_e32 v104, 0x3eb8f4ab, v100
	v_mul_f32_e32 v110, 0x3eb8f4ab, v105
	v_mul_f32_e32 v126, 0xbf06c442, v100
	v_mul_f32_e32 v128, 0xbf06c442, v105
	v_add_f32_e32 v38, v41, v38
	v_fma_f32 v41, 0xbf7ba420, v73, -v93
	v_add_f32_e32 v39, v2, v39
	v_add_f32_e32 v2, v3, v0
	v_fmamk_f32 v0, v71, 0x3f6eb680, v104
	v_fma_f32 v57, 0x3f6eb680, v73, -v110
	v_fmamk_f32 v129, v71, 0xbf59a7d5, v126
	v_fma_f32 v130, 0xbf59a7d5, v73, -v128
	v_add_f32_e32 v3, v41, v1
	v_add_f32_e32 v0, v0, v40
	;; [unrolled: 1-line block ×5, first 2 shown]
	s_barrier
	buffer_gl0_inv
	s_and_saveexec_b32 s4, vcc_lo
	s_cbranch_execz .LBB0_7
; %bb.6:
	v_add_f32_e32 v7, v7, v5
	v_mul_f32_e32 v133, 0xbe8c1d8e, v43
	v_mul_f32_e32 v134, 0xbf59a7d5, v45
	v_add_f32_e32 v6, v6, v4
	v_mul_f32_e32 v135, 0xbf763a35, v70
	v_add_f32_e32 v7, v33, v7
	v_fmamk_f32 v33, v82, 0x3f763a35, v133
	v_mul_f32_e32 v137, 0x3f3d2fb0, v47
	v_mul_f32_e32 v136, 0x3f06c442, v77
	v_add_f32_e32 v6, v32, v6
	v_add_f32_e32 v129, v35, v7
	;; [unrolled: 1-line block ×3, first 2 shown]
	v_fmamk_f32 v33, v87, 0xbf06c442, v134
	v_fmamk_f32 v32, v42, 0xbe8c1d8e, v135
	v_mul_f32_e32 v139, 0x3ee437d1, v50
	v_fmamk_f32 v35, v44, 0xbf59a7d5, v136
	v_mul_f32_e32 v138, 0x3f2c7751, v85
	v_add_f32_e32 v7, v33, v7
	v_fmamk_f32 v33, v95, 0xbf2c7751, v137
	v_add_f32_e32 v32, v32, v4
	v_mul_f32_e32 v141, 0xbf7ba420, v54
	v_mul_f32_e32 v140, 0xbf65296c, v91
	;; [unrolled: 1-line block ×3, first 2 shown]
	v_add_f32_e32 v7, v33, v7
	v_fmamk_f32 v33, v101, 0x3f65296c, v139
	v_add_f32_e32 v32, v35, v32
	v_fmamk_f32 v35, v46, 0x3f3d2fb0, v138
	v_mul_f32_e32 v142, 0xbe3c28d5, v98
	v_mul_f32_e32 v145, 0x3f6eb680, v67
	v_add_f32_e32 v7, v33, v7
	v_fmamk_f32 v33, v109, 0x3e3c28d5, v141
	v_add_f32_e32 v32, v35, v32
	v_fmamk_f32 v35, v49, 0x3ee437d1, v140
	v_mul_f32_e32 v144, 0x3f7ee86f, v102
	v_mul_f32_e32 v147, 0xbf1a4643, v73
	v_add_f32_e32 v7, v33, v7
	v_fmamk_f32 v33, v112, 0xbf7ee86f, v143
	v_add_f32_e32 v32, v35, v32
	v_fmamk_f32 v35, v53, 0xbf7ba420, v142
	v_mul_f32_e32 v146, 0xbeb8f4ab, v103
	v_add_f32_e32 v130, v34, v6
	v_add_f32_e32 v7, v33, v7
	v_fmamk_f32 v33, v119, 0x3eb8f4ab, v145
	v_add_f32_e32 v32, v35, v32
	v_fmamk_f32 v35, v60, 0x3dbcf732, v144
	v_mul_f32_e32 v131, 0xbf1a4643, v43
	v_mul_f32_e32 v132, 0xbf4c4adb, v70
	v_add_f32_e32 v6, v33, v7
	v_fmamk_f32 v7, v105, 0x3f4c4adb, v147
	v_add_f32_e32 v32, v35, v32
	v_fmamk_f32 v35, v65, 0x3f6eb680, v146
	v_mul_f32_e32 v149, 0xbe8c1d8e, v45
	v_fmamk_f32 v34, v42, 0xbf1a4643, v132
	v_add_f32_e32 v7, v7, v6
	v_fmamk_f32 v6, v82, 0x3f4c4adb, v131
	v_add_f32_e32 v32, v35, v32
	v_mul_f32_e32 v150, 0x3f763a35, v77
	v_fmamk_f32 v35, v87, 0xbf763a35, v149
	v_mul_f32_e32 v151, 0x3f6eb680, v47
	v_add_f32_e32 v6, v6, v5
	v_add_f32_e32 v34, v34, v4
	v_fmamk_f32 v38, v44, 0xbe8c1d8e, v150
	v_mul_f32_e32 v152, 0xbeb8f4ab, v85
	v_mul_f32_e32 v153, 0xbf59a7d5, v50
	v_add_f32_e32 v6, v35, v6
	v_fmamk_f32 v35, v95, 0x3eb8f4ab, v151
	v_add_f32_e32 v34, v38, v34
	v_fmamk_f32 v38, v46, 0x3f6eb680, v152
	v_mul_f32_e32 v154, 0xbf06c442, v91
	v_mul_f32_e32 v155, 0x3dbcf732, v54
	v_add_f32_e32 v6, v35, v6
	v_fmamk_f32 v35, v101, 0x3f06c442, v153
	;; [unrolled: 6-line block ×3, first 2 shown]
	v_mul_f32_e32 v148, 0xbf4c4adb, v100
	v_add_f32_e32 v34, v38, v34
	v_fmamk_f32 v38, v53, 0x3dbcf732, v156
	v_mul_f32_e32 v158, 0xbf2c7751, v102
	v_add_f32_e32 v6, v35, v6
	v_fmamk_f32 v35, v112, 0x3f2c7751, v157
	v_mul_f32_e32 v159, 0xbf7ba420, v67
	v_fmamk_f32 v33, v71, 0xbf1a4643, v148
	v_add_f32_e32 v34, v38, v34
	v_fmamk_f32 v38, v60, 0x3f3d2fb0, v158
	v_mul_f32_e32 v160, 0xbe3c28d5, v103
	v_add_f32_e32 v35, v35, v6
	v_fmamk_f32 v39, v119, 0x3e3c28d5, v159
	v_mul_f32_e32 v161, 0x3ee437d1, v73
	v_add_f32_e32 v34, v38, v34
	v_fmamk_f32 v38, v65, 0xbf7ba420, v160
	v_add_f32_e32 v6, v33, v32
	v_add_f32_e32 v32, v39, v35
	v_fmamk_f32 v33, v105, 0xbf65296c, v161
	v_mul_f32_e32 v40, 0xbf59a7d5, v43
	v_mul_f32_e32 v41, 0xbf06c442, v70
	v_add_f32_e32 v34, v38, v34
	v_mul_f32_e32 v163, 0x3ee437d1, v45
	v_add_f32_e32 v33, v33, v32
	v_fmamk_f32 v32, v82, 0x3f06c442, v40
	v_fmamk_f32 v38, v42, 0xbf59a7d5, v41
	v_mul_f32_e32 v164, 0x3f65296c, v77
	v_fmamk_f32 v39, v87, 0xbf65296c, v163
	v_mul_f32_e32 v165, 0x3dbcf732, v47
	v_add_f32_e32 v32, v32, v5
	v_add_f32_e32 v38, v38, v4
	v_fmamk_f32 v166, v44, 0x3ee437d1, v164
	v_mul_f32_e32 v167, 0xbf7ee86f, v85
	v_mul_f32_e32 v168, 0xbf1a4643, v50
	v_add_f32_e32 v32, v39, v32
	v_fmamk_f32 v39, v95, 0x3f7ee86f, v165
	v_add_f32_e32 v38, v166, v38
	v_fmamk_f32 v166, v46, 0x3dbcf732, v167
	v_mul_f32_e32 v169, 0x3f4c4adb, v91
	v_mul_f32_e32 v170, 0x3f6eb680, v54
	v_add_f32_e32 v32, v39, v32
	v_fmamk_f32 v39, v101, 0xbf4c4adb, v168
	;; [unrolled: 6-line block ×3, first 2 shown]
	v_mul_f32_e32 v172, 0xbf7ba420, v62
	v_add_f32_e32 v38, v166, v38
	v_fmamk_f32 v166, v53, 0x3f6eb680, v171
	v_mul_f32_e32 v173, 0xbe3c28d5, v102
	v_fmamk_f32 v35, v71, 0x3ee437d1, v162
	v_add_f32_e32 v39, v39, v32
	v_fmamk_f32 v174, v112, 0x3e3c28d5, v172
	v_mul_f32_e32 v175, 0x3f3d2fb0, v67
	v_add_f32_e32 v38, v166, v38
	v_fmamk_f32 v166, v60, 0xbf7ba420, v173
	v_mul_f32_e32 v177, 0xbf7ba420, v43
	v_add_f32_e32 v32, v35, v34
	v_add_f32_e32 v34, v174, v39
	v_fmamk_f32 v35, v119, 0xbf2c7751, v175
	v_add_f32_e32 v38, v166, v38
	v_fmamk_f32 v166, v82, 0x3e3c28d5, v177
	v_mul_f32_e32 v174, 0x3f6eb680, v45
	v_mul_f32_e32 v180, 0xbf59a7d5, v47
	v_add_f32_e32 v34, v35, v34
	v_mul_f32_e32 v181, 0xbe3c28d5, v70
	v_add_f32_e32 v35, v166, v5
	v_fmamk_f32 v166, v87, 0xbeb8f4ab, v174
	v_mul_f32_e32 v182, 0x3f3d2fb0, v50
	v_mul_f32_e32 v176, 0x3f2c7751, v103
	v_fmamk_f32 v184, v42, 0xbf7ba420, v181
	v_mul_f32_e32 v185, 0x3eb8f4ab, v77
	v_add_f32_e32 v35, v166, v35
	v_fmamk_f32 v166, v95, 0x3f06c442, v180
	v_mul_f32_e32 v186, 0xbf1a4643, v54
	v_fmamk_f32 v39, v65, 0x3f3d2fb0, v176
	v_mul_f32_e32 v178, 0xbe8c1d8e, v73
	v_add_f32_e32 v184, v184, v4
	v_add_f32_e32 v35, v166, v35
	v_fmamk_f32 v166, v101, 0xbf2c7751, v182
	v_fmamk_f32 v187, v44, 0x3f6eb680, v185
	v_mul_f32_e32 v188, 0xbf06c442, v85
	v_mul_f32_e32 v189, 0x3ee437d1, v62
	;; [unrolled: 1-line block ×3, first 2 shown]
	v_add_f32_e32 v35, v166, v35
	v_fmamk_f32 v166, v109, 0x3f4c4adb, v186
	v_add_f32_e32 v38, v39, v38
	v_fmamk_f32 v39, v105, 0x3f763a35, v178
	;; [unrolled: 2-line block ×3, first 2 shown]
	v_mul_f32_e32 v190, 0x3f2c7751, v91
	v_add_f32_e32 v166, v166, v35
	v_fmamk_f32 v191, v112, 0xbf65296c, v189
	v_mul_f32_e32 v192, 0xbe8c1d8e, v67
	v_fmamk_f32 v183, v71, 0xbe8c1d8e, v179
	v_add_f32_e32 v184, v187, v184
	v_fmamk_f32 v187, v49, 0x3f3d2fb0, v190
	v_mul_f32_e32 v193, 0xbf4c4adb, v98
	v_add_f32_e32 v35, v39, v34
	v_add_f32_e32 v39, v191, v166
	v_fmamk_f32 v166, v119, 0x3f763a35, v192
	v_add_f32_e32 v184, v187, v184
	v_fmamk_f32 v187, v53, 0xbf1a4643, v193
	v_add_f32_e32 v34, v183, v38
	v_fmac_f32_e32 v177, 0xbe3c28d5, v82
	v_add_f32_e32 v38, v166, v39
	v_mul_f32_e32 v166, 0x3f65296c, v102
	v_fma_f32 v181, 0xbf7ba420, v42, -v181
	v_add_f32_e32 v39, v187, v184
	v_add_f32_e32 v177, v177, v5
	v_fmac_f32_e32 v174, 0x3eb8f4ab, v87
	v_fmamk_f32 v183, v60, 0x3ee437d1, v166
	v_mul_f32_e32 v184, 0xbf763a35, v103
	v_add_f32_e32 v181, v181, v4
	v_fma_f32 v185, 0x3f6eb680, v44, -v185
	v_add_f32_e32 v174, v174, v177
	v_fmac_f32_e32 v180, 0xbf06c442, v95
	v_add_f32_e32 v39, v183, v39
	v_fmamk_f32 v177, v65, 0xbe8c1d8e, v184
	v_add_f32_e32 v181, v185, v181
	v_fma_f32 v183, 0xbf59a7d5, v46, -v188
	v_add_f32_e32 v174, v180, v174
	v_fmac_f32_e32 v182, 0x3f2c7751, v101
	v_add_f32_e32 v177, v177, v39
	v_mul_f32_e32 v180, 0x3dbcf732, v73
	v_add_f32_e32 v39, v183, v181
	v_fma_f32 v181, 0x3f3d2fb0, v49, -v190
	v_add_f32_e32 v174, v182, v174
	v_mul_f32_e32 v183, 0x3f7ee86f, v100
	v_fmamk_f32 v182, v105, 0xbf7ee86f, v180
	v_fma_f32 v185, 0xbf1a4643, v53, -v193
	v_add_f32_e32 v181, v181, v39
	v_fma_f32 v166, 0x3ee437d1, v60, -v166
	v_fmac_f32_e32 v40, 0xbf06c442, v82
	v_add_f32_e32 v39, v182, v38
	v_fmamk_f32 v38, v71, 0x3dbcf732, v183
	v_add_f32_e32 v181, v185, v181
	v_fma_f32 v41, 0xbf59a7d5, v42, -v41
	v_add_f32_e32 v40, v40, v5
	v_fmac_f32_e32 v163, 0x3f65296c, v87
	v_add_f32_e32 v38, v38, v177
	v_add_f32_e32 v166, v166, v181
	v_fma_f32 v177, 0xbe8c1d8e, v65, -v184
	v_fma_f32 v164, 0x3ee437d1, v44, -v164
	v_add_f32_e32 v163, v163, v40
	v_fmac_f32_e32 v165, 0xbf7ee86f, v95
	v_fma_f32 v167, 0x3dbcf732, v46, -v167
	v_add_f32_e32 v166, v177, v166
	v_add_f32_e32 v177, v41, v4
	v_fmac_f32_e32 v131, 0xbf4c4adb, v82
	v_add_f32_e32 v163, v165, v163
	v_fmac_f32_e32 v168, 0x3f4c4adb, v101
	v_fma_f32 v165, 0xbf1a4643, v49, -v169
	v_add_f32_e32 v164, v164, v177
	v_add_f32_e32 v131, v131, v5
	v_fmac_f32_e32 v149, 0x3f763a35, v87
	v_add_f32_e32 v163, v168, v163
	v_fmac_f32_e32 v170, 0xbeb8f4ab, v109
	;; [unrolled: 2-line block ×4, first 2 shown]
	v_add_f32_e32 v149, v170, v163
	v_add_f32_e32 v164, v165, v164
	v_fma_f32 v165, 0x3f6eb680, v53, -v171
	v_add_f32_e32 v131, v151, v131
	v_fmac_f32_e32 v153, 0xbf06c442, v101
	v_fma_f32 v132, 0xbf1a4643, v42, -v132
	v_add_f32_e32 v149, v172, v149
	v_add_f32_e32 v163, v165, v164
	v_fma_f32 v164, 0xbf7ba420, v60, -v173
	v_fmac_f32_e32 v175, 0x3f2c7751, v119
	v_add_f32_e32 v131, v153, v131
	v_fmac_f32_e32 v155, 0x3f7ee86f, v109
	v_add_f32_e32 v153, v132, v4
	v_add_f32_e32 v151, v164, v163
	v_fma_f32 v163, 0x3f3d2fb0, v65, -v176
	v_fma_f32 v150, 0xbe8c1d8e, v44, -v150
	v_add_f32_e32 v149, v175, v149
	v_fmac_f32_e32 v178, 0xbf763a35, v105
	v_add_f32_e32 v131, v155, v131
	v_add_f32_e32 v151, v163, v151
	v_fmac_f32_e32 v157, 0xbf2c7751, v112
	v_fma_f32 v155, 0xbe8c1d8e, v71, -v179
	v_add_f32_e32 v150, v150, v153
	v_fma_f32 v152, 0x3f6eb680, v46, -v152
	v_fmac_f32_e32 v133, 0xbf763a35, v82
	v_add_f32_e32 v132, v178, v149
	v_add_f32_e32 v149, v157, v131
	;; [unrolled: 1-line block ×3, first 2 shown]
	v_fma_f32 v135, 0xbe8c1d8e, v42, -v135
	v_add_f32_e32 v150, v152, v150
	v_fma_f32 v151, 0xbf59a7d5, v49, -v154
	v_add_f32_e32 v133, v133, v5
	v_fmac_f32_e32 v134, 0x3f06c442, v87
	v_add_f32_e32 v135, v135, v4
	v_fma_f32 v136, 0xbf59a7d5, v44, -v136
	v_add_f32_e32 v150, v151, v150
	v_fma_f32 v151, 0x3dbcf732, v53, -v156
	v_add_f32_e32 v133, v134, v133
	v_fmac_f32_e32 v137, 0x3f2c7751, v95
	v_add_f32_e32 v134, v136, v135
	v_fma_f32 v135, 0x3f3d2fb0, v46, -v138
	v_add_f32_e32 v136, v151, v150
	v_fma_f32 v138, 0x3f3d2fb0, v60, -v158
	v_add_f32_e32 v133, v137, v133
	v_fmac_f32_e32 v139, 0xbf65296c, v101
	v_fma_f32 v137, 0xbf7ba420, v65, -v160
	v_fmac_f32_e32 v141, 0xbe3c28d5, v109
	v_add_f32_e32 v136, v138, v136
	v_fmac_f32_e32 v143, 0x3f7ee86f, v112
	v_add_f32_e32 v133, v139, v133
	v_fma_f32 v138, 0x3ee437d1, v71, -v162
	v_add_f32_e32 v134, v135, v134
	v_add_f32_e32 v136, v137, v136
	v_fma_f32 v135, 0x3ee437d1, v49, -v140
	v_add_f32_e32 v133, v141, v133
	v_mul_f32_e32 v140, 0x3ee437d1, v43
	v_fmac_f32_e32 v145, 0xbeb8f4ab, v119
	v_mul_f32_e32 v82, 0xbf7ee86f, v82
	v_mul_f32_e32 v87, 0xbe3c28d5, v87
	v_add_f32_e32 v139, v143, v133
	v_add_f32_e32 v133, v138, v136
	v_mul_f32_e32 v138, 0xbf1a4643, v45
	v_add_f32_e32 v106, v106, v140
	v_mul_f32_e32 v140, 0xbf1a4643, v44
	;; [unrolled: 2-line block ×4, first 2 shown]
	v_add_f32_e32 v106, v106, v5
	v_sub_f32_e32 v107, v140, v107
	v_mul_f32_e32 v101, 0x3eb8f4ab, v101
	v_mul_f32_e32 v70, 0xbf7ee86f, v70
	v_sub_f32_e32 v96, v138, v96
	v_add_f32_e32 v106, v113, v106
	v_add_f32_e32 v113, v114, v139
	v_mul_f32_e32 v114, 0xbe8c1d8e, v50
	v_mul_f32_e32 v138, 0xbf7ba420, v46
	v_add_f32_e32 v96, v96, v4
	v_fmac_f32_e32 v186, 0xbf4c4adb, v109
	v_add_f32_e32 v106, v113, v106
	v_add_f32_e32 v113, v120, v114
	v_mul_f32_e32 v114, 0x3f3d2fb0, v54
	v_add_f32_e32 v96, v107, v96
	v_sub_f32_e32 v107, v138, v111
	v_mul_f32_e32 v111, 0xbe8c1d8e, v49
	v_add_f32_e32 v106, v113, v106
	v_add_f32_e32 v113, v123, v114
	v_mul_f32_e32 v114, 0x3f6eb680, v62
	v_add_f32_e32 v96, v107, v96
	v_sub_f32_e32 v107, v111, v118
	v_mul_f32_e32 v111, 0x3f3d2fb0, v53
	v_add_f32_e32 v106, v113, v106
	v_add_f32_e32 v113, v125, v114
	v_mul_f32_e32 v114, 0x3f6eb680, v60
	v_add_f32_e32 v96, v107, v96
	v_mul_f32_e32 v107, 0x3dbcf732, v67
	v_sub_f32_e32 v111, v111, v121
	v_add_f32_e32 v106, v113, v106
	v_fmamk_f32 v113, v43, 0x3dbcf732, v82
	v_fmamk_f32 v118, v45, 0xbf7ba420, v87
	v_add_f32_e32 v107, v127, v107
	v_add_f32_e32 v96, v111, v96
	v_sub_f32_e32 v111, v114, v122
	v_add_f32_e32 v113, v113, v5
	v_mul_f32_e32 v120, 0x3f763a35, v95
	v_add_f32_e32 v106, v107, v106
	v_mul_f32_e32 v107, 0x3dbcf732, v65
	v_add_f32_e32 v95, v111, v96
	v_mul_f32_e32 v114, 0xbf59a7d5, v73
	v_add_f32_e32 v111, v118, v113
	v_fmamk_f32 v113, v47, 0xbe8c1d8e, v120
	v_sub_f32_e32 v96, v107, v124
	v_mul_f32_e32 v109, 0xbf65296c, v109
	v_add_f32_e32 v107, v128, v114
	v_mul_f32_e32 v77, 0xbe3c28d5, v77
	v_add_f32_e32 v111, v113, v111
	v_add_f32_e32 v95, v96, v95
	v_mul_f32_e32 v96, 0xbf59a7d5, v71
	v_fmamk_f32 v113, v50, 0x3f6eb680, v101
	v_fma_f32 v121, 0xbf7ba420, v44, -v77
	v_mul_f32_e32 v85, 0x3f763a35, v85
	v_fmac_f32_e32 v189, 0x3f65296c, v112
	v_sub_f32_e32 v114, v96, v126
	v_fma_f32 v96, 0x3dbcf732, v42, -v70
	v_add_f32_e32 v111, v113, v111
	v_fmamk_f32 v113, v54, 0x3ee437d1, v109
	v_mul_f32_e32 v112, 0xbf06c442, v112
	v_mul_f32_e32 v91, 0x3eb8f4ab, v91
	v_add_f32_e32 v118, v96, v4
	v_add_f32_e32 v96, v107, v106
	;; [unrolled: 1-line block ×3, first 2 shown]
	v_fma_f32 v113, 0xbe8c1d8e, v46, -v85
	v_fmamk_f32 v107, v62, 0xbf59a7d5, v112
	v_add_f32_e32 v111, v121, v118
	v_add_f32_e32 v95, v114, v95
	v_fma_f32 v114, 0x3f6eb680, v49, -v91
	v_mul_f32_e32 v98, 0xbf65296c, v98
	v_fmac_f32_e32 v192, 0xbf763a35, v119
	v_add_f32_e32 v111, v113, v111
	v_mul_f32_e32 v113, 0x3f3d2fb0, v43
	v_fmac_f32_e32 v159, 0xbe3c28d5, v119
	v_add_f32_e32 v106, v107, v106
	v_mul_f32_e32 v107, 0x3f4c4adb, v119
	v_mul_f32_e32 v119, 0x3dbcf732, v45
	v_add_f32_e32 v66, v66, v113
	v_add_f32_e32 v111, v114, v111
	v_fma_f32 v113, 0x3ee437d1, v53, -v98
	v_mul_f32_e32 v114, 0xbf1a4643, v47
	v_add_f32_e32 v74, v74, v119
	v_add_f32_e32 v66, v66, v5
	v_mul_f32_e32 v102, 0xbf06c442, v102
	v_add_f32_e32 v111, v113, v111
	v_mul_f32_e32 v113, 0x3f3d2fb0, v42
	v_add_f32_e32 v29, v29, v129
	v_add_f32_e32 v66, v74, v66
	;; [unrolled: 1-line block ×3, first 2 shown]
	v_mul_f32_e32 v78, 0x3dbcf732, v44
	v_sub_f32_e32 v61, v113, v61
	v_fma_f32 v113, 0xbf59a7d5, v60, -v102
	v_mul_f32_e32 v114, 0xbf7ba420, v50
	v_add_f32_e32 v66, v74, v66
	v_sub_f32_e32 v69, v78, v69
	v_add_f32_e32 v61, v61, v4
	v_mul_f32_e32 v74, 0xbf1a4643, v46
	v_add_f32_e32 v78, v84, v114
	v_add_f32_e32 v84, v113, v111
	v_mul_f32_e32 v111, 0xbf59a7d5, v54
	v_add_f32_e32 v61, v69, v61
	v_sub_f32_e32 v69, v74, v76
	v_add_f32_e32 v66, v78, v66
	v_mul_f32_e32 v74, 0xbf7ba420, v49
	v_add_f32_e32 v76, v90, v111
	v_mul_f32_e32 v78, 0x3f6eb680, v42
	;; [unrolled: 2-line block ×3, first 2 shown]
	v_sub_f32_e32 v74, v74, v83
	v_mul_f32_e32 v83, 0x3f6eb680, v43
	v_add_f32_e32 v66, v76, v66
	v_mul_f32_e32 v76, 0xbf59a7d5, v53
	v_add_f32_e32 v69, v97, v69
	v_add_f32_e32 v61, v74, v61
	v_mul_f32_e32 v74, 0x3ee437d1, v67
	v_add_f32_e32 v51, v51, v83
	v_sub_f32_e32 v76, v76, v89
	v_mul_f32_e32 v89, 0x3f3d2fb0, v45
	v_add_f32_e32 v66, v69, v66
	v_mul_f32_e32 v69, 0xbe8c1d8e, v60
	v_mul_f32_e32 v90, 0x3f3d2fb0, v44
	;; [unrolled: 1-line block ×3, first 2 shown]
	v_add_f32_e32 v74, v108, v74
	v_add_f32_e32 v61, v76, v61
	v_sub_f32_e32 v69, v69, v94
	v_mul_f32_e32 v94, 0x3ee437d1, v47
	v_mul_f32_e32 v83, 0x3f6eb680, v73
	v_add_f32_e32 v55, v55, v89
	v_add_f32_e32 v51, v51, v5
	v_sub_f32_e32 v48, v78, v48
	v_fma_f32 v103, 0xbf1a4643, v65, -v97
	v_mul_f32_e32 v76, 0x3ee437d1, v46
	v_add_f32_e32 v66, v74, v66
	v_mul_f32_e32 v74, 0x3ee437d1, v65
	v_add_f32_e32 v61, v69, v61
	;; [unrolled: 2-line block ×3, first 2 shown]
	v_add_f32_e32 v51, v55, v51
	v_add_f32_e32 v63, v63, v94
	;; [unrolled: 1-line block ×3, first 2 shown]
	v_sub_f32_e32 v52, v90, v52
	v_add_f32_e32 v28, v28, v130
	v_add_f32_e32 v84, v103, v84
	v_mul_f32_e32 v103, 0x3dbcf732, v49
	v_sub_f32_e32 v74, v74, v99
	v_mul_f32_e32 v89, 0xbe8c1d8e, v54
	v_add_f32_e32 v63, v63, v51
	v_add_f32_e32 v52, v52, v48
	v_sub_f32_e32 v59, v76, v59
	v_add_f32_e32 v51, v83, v66
	v_add_f32_e32 v66, v68, v69
	;; [unrolled: 1-line block ×4, first 2 shown]
	v_mul_f32_e32 v99, 0xbe8c1d8e, v53
	v_add_f32_e32 v61, v74, v61
	v_mul_f32_e32 v74, 0xbf1a4643, v62
	v_add_f32_e32 v52, v59, v52
	v_sub_f32_e32 v59, v103, v64
	v_add_f32_e32 v63, v66, v63
	v_add_f32_e32 v31, v75, v89
	;; [unrolled: 1-line block ×4, first 2 shown]
	v_mul_f32_e32 v108, 0xbf1a4643, v60
	v_mul_f32_e32 v78, 0xbf59a7d5, v67
	v_add_f32_e32 v52, v59, v52
	v_sub_f32_e32 v59, v99, v72
	v_add_f32_e32 v29, v31, v63
	v_add_f32_e32 v30, v81, v74
	;; [unrolled: 1-line block ×4, first 2 shown]
	v_mul_f32_e32 v110, 0xbf7ba420, v73
	v_add_f32_e32 v31, v59, v52
	v_sub_f32_e32 v27, v108, v79
	v_add_f32_e32 v28, v30, v29
	v_add_f32_e32 v29, v88, v78
	;; [unrolled: 1-line block ×5, first 2 shown]
	v_fmac_f32_e32 v70, 0x3dbcf732, v42
	v_add_f32_e32 v27, v29, v28
	v_add_f32_e32 v21, v23, v21
	;; [unrolled: 1-line block ×5, first 2 shown]
	v_fmac_f32_e32 v77, 0xbf7ba420, v44
	v_add_f32_e32 v17, v17, v21
	v_add_f32_e32 v21, v23, v27
	v_fma_f32 v23, 0x3dbcf732, v43, -v82
	v_add_f32_e32 v16, v16, v22
	v_add_f32_e32 v4, v77, v4
	;; [unrolled: 1-line block ×3, first 2 shown]
	v_fma_f32 v19, 0xbf7ba420, v45, -v87
	v_add_f32_e32 v5, v23, v5
	v_add_f32_e32 v16, v18, v16
	v_fmac_f32_e32 v85, 0xbe8c1d8e, v46
	v_add_f32_e32 v13, v13, v17
	v_fma_f32 v17, 0xbe8c1d8e, v47, -v120
	v_add_f32_e32 v5, v19, v5
	v_add_f32_e32 v12, v12, v16
	;; [unrolled: 1-line block ×4, first 2 shown]
	v_fma_f32 v15, 0x3f6eb680, v50, -v101
	v_add_f32_e32 v5, v17, v5
	v_fmac_f32_e32 v91, 0x3f6eb680, v49
	v_add_f32_e32 v12, v14, v12
	v_add_f32_e32 v134, v135, v134
	v_fma_f32 v135, 0xbf7ba420, v53, -v142
	v_mul_f32_e32 v55, 0xbf59a7d5, v65
	v_add_f32_e32 v9, v9, v13
	v_add_f32_e32 v5, v15, v5
	v_fma_f32 v13, 0x3ee437d1, v54, -v109
	v_add_f32_e32 v4, v91, v4
	v_fmac_f32_e32 v98, 0x3ee437d1, v53
	v_add_f32_e32 v8, v8, v12
	v_add_f32_e32 v135, v135, v134
	v_fma_f32 v137, 0x3dbcf732, v60, -v144
	v_add_f32_e32 v174, v186, v174
	v_mul_f32_e32 v94, 0xbf7ba420, v71
	v_sub_f32_e32 v26, v55, v86
	v_add_f32_e32 v9, v11, v9
	v_add_f32_e32 v11, v13, v5
	v_fma_f32 v12, 0xbf59a7d5, v62, -v112
	v_add_f32_e32 v4, v98, v4
	v_fmac_f32_e32 v102, 0xbf59a7d5, v60
	v_add_f32_e32 v8, v10, v8
	v_mul_lo_u16 v10, v116, 17
	v_mul_f32_e32 v111, 0x3f6eb680, v71
	v_fmac_f32_e32 v180, 0x3f7ee86f, v105
	v_fmac_f32_e32 v161, 0x3f65296c, v105
	v_add_f32_e32 v135, v137, v135
	v_fma_f32 v137, 0x3f6eb680, v65, -v146
	v_fmac_f32_e32 v147, 0xbf4c4adb, v105
	v_fmamk_f32 v118, v67, 0xbf1a4643, v107
	v_mul_f32_e32 v105, 0x3f2c7751, v105
	v_mul_f32_e32 v100, 0x3f2c7751, v100
	v_add_f32_e32 v174, v189, v174
	v_add_f32_e32 v24, v26, v25
	v_sub_f32_e32 v25, v94, v92
	v_add_f32_e32 v5, v37, v9
	v_add_f32_e32 v9, v12, v11
	v_fma_f32 v11, 0xbf1a4643, v67, -v107
	v_add_f32_e32 v12, v102, v4
	v_fmac_f32_e32 v97, 0xbf1a4643, v65
	v_add_f32_e32 v4, v36, v8
	v_and_b32_e32 v8, 0xffff, v10
	v_sub_f32_e32 v68, v111, v104
	v_add_f32_e32 v135, v137, v135
	v_fma_f32 v137, 0xbf1a4643, v71, -v148
	v_add_f32_e32 v106, v118, v106
	v_fmamk_f32 v90, v73, 0x3f3d2fb0, v105
	v_fma_f32 v76, 0x3f3d2fb0, v71, -v100
	v_add_f32_e32 v149, v159, v149
	v_add_f32_e32 v174, v192, v174
	v_fma_f32 v40, 0x3dbcf732, v71, -v183
	v_add_f32_e32 v20, v25, v24
	v_add_f32_e32 v9, v11, v9
	v_fma_f32 v10, 0x3f3d2fb0, v73, -v105
	v_add_f32_e32 v11, v97, v12
	v_fmac_f32_e32 v100, 0x3f3d2fb0, v71
	v_add_lshl_u32 v12, v58, v8, 3
	v_add_f32_e32 v50, v68, v61
	v_add_f32_e32 v136, v147, v136
	v_add_f32_e32 v135, v137, v135
	v_add_f32_e32 v48, v90, v106
	v_add_f32_e32 v47, v76, v84
	v_add_f32_e32 v134, v161, v149
	v_add_f32_e32 v41, v180, v174
	v_add_f32_e32 v40, v40, v166
	v_add_f32_e32 v9, v10, v9
	v_add_f32_e32 v8, v100, v11
	ds_write2_b64 v12, v[4:5], v[20:21] offset1:1
	ds_write2_b64 v12, v[50:51], v[95:96] offset0:2 offset1:3
	ds_write2_b64 v12, v[47:48], v[135:136] offset0:4 offset1:5
	;; [unrolled: 1-line block ×7, first 2 shown]
	ds_write_b64 v12, v[2:3] offset:128
.LBB0_7:
	s_or_b32 exec_lo, exec_lo, s4
	v_and_b32_e32 v5, 0xff, v116
	v_add_nc_u16 v4, v116, 0x55
	v_add_co_u32 v10, null, 0x154, v116
	v_add_co_u32 v11, null, 0x1a9, v116
	v_mul_lo_u16 v7, 0xf1, v5
	v_and_b32_e32 v5, 0xff, v4
	v_mov_b32_e32 v13, 0xf0f1
	v_add_co_u32 v14, null, 0x1fe, v116
	v_lshrrev_b16 v18, 12, v7
	v_mul_lo_u16 v6, 0xf1, v5
	v_add_nc_u16 v5, v116, 0xaa
	v_mov_b32_e32 v12, 3
	v_mul_u32_u24_sdwa v16, v10, v13 dst_sel:DWORD dst_unused:UNUSED_PAD src0_sel:WORD_0 src1_sel:DWORD
	v_mul_lo_u16 v8, v18, 17
	v_lshrrev_b16 v31, 12, v6
	v_mul_u32_u24_sdwa v19, v11, v13 dst_sel:DWORD dst_unused:UNUSED_PAD src0_sel:WORD_0 src1_sel:DWORD
	v_mul_u32_u24_sdwa v20, v14, v13 dst_sel:DWORD dst_unused:UNUSED_PAD src0_sel:WORD_0 src1_sel:DWORD
	v_add_co_u32 v9, null, 0xff, v116
	v_sub_nc_u16 v30, v116, v8
	v_and_b32_e32 v8, 0xff, v5
	v_mul_lo_u16 v17, v31, 17
	v_lshrrev_b32_e32 v40, 20, v16
	v_lshrrev_b32_e32 v42, 20, v19
	v_lshlrev_b32_sdwa v15, v12, v30 dst_sel:DWORD dst_unused:UNUSED_PAD src0_sel:DWORD src1_sel:BYTE_0
	v_mul_lo_u16 v8, 0xf1, v8
	v_lshrrev_b32_e32 v43, 20, v20
	v_mul_u32_u24_sdwa v13, v9, v13 dst_sel:DWORD dst_unused:UNUSED_PAD src0_sel:WORD_0 src1_sel:DWORD
	s_load_dwordx4 s[4:7], s[0:1], 0x0
	s_waitcnt lgkmcnt(0)
	s_barrier
	buffer_gl0_inv
	global_load_dwordx2 v[83:84], v15, s[2:3]
	v_sub_nc_u16 v41, v4, v17
	v_mul_lo_u16 v15, v40, 17
	v_mul_lo_u16 v16, v42, 17
	v_lshrrev_b16 v44, 12, v8
	v_mul_lo_u16 v17, v43, 17
	v_lshrrev_b32_e32 v46, 20, v13
	v_sub_nc_u16 v45, v10, v15
	v_sub_nc_u16 v47, v11, v16
	v_mul_lo_u16 v10, v44, 17
	v_sub_nc_u16 v48, v14, v17
	v_mul_lo_u16 v13, v46, 17
	v_lshlrev_b32_sdwa v11, v12, v45 dst_sel:DWORD dst_unused:UNUSED_PAD src0_sel:DWORD src1_sel:WORD_0
	v_lshlrev_b32_sdwa v14, v12, v47 dst_sel:DWORD dst_unused:UNUSED_PAD src0_sel:DWORD src1_sel:WORD_0
	v_sub_nc_u16 v49, v5, v10
	v_lshlrev_b32_sdwa v10, v12, v48 dst_sel:DWORD dst_unused:UNUSED_PAD src0_sel:DWORD src1_sel:WORD_0
	v_sub_nc_u16 v50, v9, v13
	v_lshlrev_b32_sdwa v9, v12, v41 dst_sel:DWORD dst_unused:UNUSED_PAD src0_sel:DWORD src1_sel:BYTE_0
	s_clause 0x2
	global_load_dwordx2 v[85:86], v11, s[2:3]
	global_load_dwordx2 v[87:88], v14, s[2:3]
	;; [unrolled: 1-line block ×3, first 2 shown]
	v_lshlrev_b32_sdwa v10, v12, v49 dst_sel:DWORD dst_unused:UNUSED_PAD src0_sel:DWORD src1_sel:BYTE_0
	v_lshlrev_b32_sdwa v11, v12, v50 dst_sel:DWORD dst_unused:UNUSED_PAD src0_sel:DWORD src1_sel:WORD_0
	s_clause 0x2
	global_load_dwordx2 v[93:94], v9, s[2:3]
	global_load_dwordx2 v[91:92], v10, s[2:3]
	;; [unrolled: 1-line block ×3, first 2 shown]
	v_add_lshl_u32 v118, v58, v116, 3
	v_mul_lo_u16 v33, v18, 34
	v_mov_b32_e32 v51, 34
	v_mad_u16 v43, v43, 34, v48
	v_mad_u16 v40, v40, 34, v45
	v_add_nc_u32_e32 v59, 0xc00, v118
	v_add_nc_u32_e32 v22, 0x1000, v118
	;; [unrolled: 1-line block ×5, first 2 shown]
	ds_read2_b64 v[10:13], v118 offset1:85
	ds_read2_b64 v[14:17], v118 offset0:170 offset1:255
	ds_read2_b64 v[18:21], v59 offset0:126 offset1:211
	;; [unrolled: 1-line block ×4, first 2 shown]
	v_and_b32_e32 v53, 0xfe, v33
	ds_read2_b64 v[32:35], v32 offset0:84 offset1:169
	ds_read2_b64 v[36:39], v60 offset0:124 offset1:209
	v_mul_u32_u24_sdwa v31, v31, v51 dst_sel:DWORD dst_unused:UNUSED_PAD src0_sel:WORD_0 src1_sel:DWORD
	v_mul_u32_u24_sdwa v44, v44, v51 dst_sel:DWORD dst_unused:UNUSED_PAD src0_sel:WORD_0 src1_sel:DWORD
	v_mad_u16 v46, v46, 34, v50
	v_add_nc_u32_sdwa v30, v53, v30 dst_sel:DWORD dst_unused:UNUSED_PAD src0_sel:DWORD src1_sel:BYTE_0
	v_mad_u16 v42, v42, 34, v47
	v_and_b32_e32 v43, 0xffff, v43
	v_and_b32_e32 v40, 0xffff, v40
	v_add_nc_u32_e32 v52, 0x400, v118
	v_add_lshl_u32 v126, v58, v30, 3
	v_add_nc_u32_sdwa v30, v31, v41 dst_sel:DWORD dst_unused:UNUSED_PAD src0_sel:DWORD src1_sel:BYTE_0
	v_add_nc_u32_sdwa v31, v44, v49 dst_sel:DWORD dst_unused:UNUSED_PAD src0_sel:DWORD src1_sel:BYTE_0
	v_and_b32_e32 v41, 0xffff, v46
	v_and_b32_e32 v42, 0xffff, v42
	v_add_lshl_u32 v122, v58, v43, 3
	v_add_lshl_u32 v128, v58, v30, 3
	;; [unrolled: 1-line block ×6, first 2 shown]
	v_add_nc_u32_e32 v9, 0x1400, v118
	s_waitcnt vmcnt(0) lgkmcnt(0)
	s_barrier
	buffer_gl0_inv
	v_cmp_gt_u16_e64 s0, 0x44, v116
	v_mul_f32_e32 v31, v20, v84
	v_mul_f32_e32 v30, v21, v84
	v_fmac_f32_e32 v31, v21, v83
	v_fma_f32 v20, v20, v83, -v30
	v_sub_f32_e32 v20, v10, v20
	v_fma_f32 v10, v10, 2.0, -v20
	v_mul_f32_e32 v40, v29, v86
	v_mul_f32_e32 v43, v36, v88
	;; [unrolled: 1-line block ×12, first 2 shown]
	v_fmac_f32_e32 v43, v37, v87
	v_fma_f32 v37, v22, v93, -v21
	v_fmac_f32_e32 v46, v23, v93
	v_fma_f32 v28, v28, v85, -v40
	v_fma_f32 v40, v24, v91, -v30
	v_fmac_f32_e32 v47, v25, v91
	v_fmac_f32_e32 v41, v29, v85
	v_fma_f32 v29, v36, v87, -v42
	v_fma_f32 v42, v26, v89, -v48
	v_fmac_f32_e32 v49, v27, v89
	v_fma_f32 v36, v38, v81, -v44
	v_fmac_f32_e32 v45, v39, v81
	v_sub_f32_e32 v21, v11, v31
	v_sub_f32_e32 v24, v12, v37
	v_sub_f32_e32 v25, v13, v46
	v_sub_f32_e32 v26, v14, v40
	v_sub_f32_e32 v27, v15, v47
	v_sub_f32_e32 v23, v33, v41
	v_sub_f32_e32 v40, v16, v42
	v_sub_f32_e32 v41, v17, v49
	v_sub_f32_e32 v22, v32, v28
	v_sub_f32_e32 v30, v34, v29
	v_sub_f32_e32 v31, v35, v43
	v_sub_f32_e32 v38, v18, v36
	v_sub_f32_e32 v39, v19, v45
	v_fma_f32 v11, v11, 2.0, -v21
	v_fma_f32 v12, v12, 2.0, -v24
	;; [unrolled: 1-line block ×13, first 2 shown]
	ds_write2_b64 v126, v[10:11], v[20:21] offset1:17
	ds_write2_b64 v128, v[12:13], v[24:25] offset1:17
	;; [unrolled: 1-line block ×7, first 2 shown]
	s_waitcnt lgkmcnt(0)
	s_barrier
	buffer_gl0_inv
	ds_read2_b64 v[32:35], v118 offset1:85
	ds_read2_b64 v[52:55], v52 offset0:110 offset1:195
	ds_read2_b64 v[44:47], v59 offset0:92 offset1:177
	;; [unrolled: 1-line block ×4, first 2 shown]
	s_and_saveexec_b32 s1, s0
	s_cbranch_execz .LBB0_9
; %bb.8:
	v_add_nc_u32_e32 v10, 0x500, v118
	ds_read2_b64 v[36:39], v9 offset0:6 offset1:244
	ds_read2_b64 v[28:31], v10 offset0:10 offset1:248
	ds_read_b64 v[56:57], v118 offset:8976
.LBB0_9:
	s_or_b32 exec_lo, exec_lo, s1
	v_lshrrev_b16 v60, 13, v7
	v_lshrrev_b16 v61, 13, v6
	;; [unrolled: 1-line block ×3, first 2 shown]
	v_mov_b32_e32 v6, 5
	v_mov_b32_e32 v59, 0xaa
	v_mul_lo_u16 v7, v60, 34
	v_mul_u32_u24_sdwa v60, v60, v59 dst_sel:DWORD dst_unused:UNUSED_PAD src0_sel:WORD_0 src1_sel:DWORD
	v_sub_nc_u16 v62, v116, v7
	v_mul_lo_u16 v7, v61, 34
	v_mul_u32_u24_sdwa v61, v61, v59 dst_sel:DWORD dst_unused:UNUSED_PAD src0_sel:WORD_0 src1_sel:DWORD
	v_lshlrev_b32_sdwa v9, v6, v62 dst_sel:DWORD dst_unused:UNUSED_PAD src0_sel:DWORD src1_sel:BYTE_0
	v_sub_nc_u16 v63, v4, v7
	v_mul_lo_u16 v4, v119, 34
	v_add_nc_u32_sdwa v60, v60, v62 dst_sel:DWORD dst_unused:UNUSED_PAD src0_sel:DWORD src1_sel:BYTE_0
	global_load_dwordx4 v[24:27], v9, s[2:3] offset:136
	v_lshlrev_b32_sdwa v7, v6, v63 dst_sel:DWORD dst_unused:UNUSED_PAD src0_sel:DWORD src1_sel:BYTE_0
	v_sub_nc_u16 v120, v5, v4
	global_load_dwordx4 v[20:23], v9, s[2:3] offset:152
	v_add_nc_u32_sdwa v61, v61, v63 dst_sel:DWORD dst_unused:UNUSED_PAD src0_sel:DWORD src1_sel:BYTE_0
	v_add_lshl_u32 v130, v58, v60, 3
	global_load_dwordx4 v[16:19], v7, s[2:3] offset:136
	v_lshlrev_b32_sdwa v4, v6, v120 dst_sel:DWORD dst_unused:UNUSED_PAD src0_sel:DWORD src1_sel:BYTE_0
	s_clause 0x2
	global_load_dwordx4 v[12:15], v7, s[2:3] offset:152
	global_load_dwordx4 v[8:11], v4, s[2:3] offset:136
	;; [unrolled: 1-line block ×3, first 2 shown]
	v_add_lshl_u32 v129, v58, v61, 3
	s_waitcnt vmcnt(0) lgkmcnt(0)
	s_barrier
	buffer_gl0_inv
	v_mul_f32_e32 v64, v53, v25
	v_mul_f32_e32 v65, v52, v25
	v_mul_f32_e32 v66, v45, v27
	v_mul_f32_e32 v67, v44, v27
	v_mul_f32_e32 v68, v41, v21
	v_mul_f32_e32 v69, v40, v21
	v_mul_f32_e32 v70, v49, v23
	v_mul_f32_e32 v71, v48, v23
	v_mul_f32_e32 v72, v55, v17
	v_mul_f32_e32 v73, v54, v17
	v_mul_f32_e32 v63, v30, v9
	v_mul_f32_e32 v96, v37, v11
	v_mul_f32_e32 v62, v36, v11
	v_mul_f32_e32 v97, v39, v5
	v_mul_f32_e32 v61, v38, v5
	v_mul_f32_e32 v74, v47, v19
	v_mul_f32_e32 v75, v46, v19
	v_mul_f32_e32 v76, v43, v13
	v_mul_f32_e32 v77, v42, v13
	v_mul_f32_e32 v78, v51, v15
	v_mul_f32_e32 v79, v50, v15
	v_mul_f32_e32 v95, v31, v9
	v_mul_f32_e32 v98, v57, v7
	v_mul_f32_e32 v60, v56, v7
	v_fma_f32 v52, v52, v24, -v64
	v_fmac_f32_e32 v65, v53, v24
	v_fma_f32 v44, v44, v26, -v66
	v_fmac_f32_e32 v67, v45, v26
	;; [unrolled: 2-line block ×7, first 2 shown]
	v_fmac_f32_e32 v73, v55, v16
	v_fma_f32 v48, v46, v18, -v74
	v_fmac_f32_e32 v75, v47, v18
	v_fma_f32 v54, v42, v12, -v76
	;; [unrolled: 2-line block ×4, first 2 shown]
	v_fma_f32 v30, v56, v6, -v98
	v_fmac_f32_e32 v60, v57, v6
	v_add_f32_e32 v42, v32, v52
	v_add_f32_e32 v43, v44, v53
	v_sub_f32_e32 v45, v52, v44
	v_sub_f32_e32 v46, v66, v53
	v_add_f32_e32 v47, v52, v66
	v_add_f32_e32 v51, v33, v65
	;; [unrolled: 1-line block ×7, first 2 shown]
	v_sub_f32_e32 v49, v44, v52
	v_sub_f32_e32 v50, v53, v66
	v_add_f32_e32 v95, v48, v54
	v_add_f32_e32 v103, v35, v73
	;; [unrolled: 1-line block ×5, first 2 shown]
	v_sub_f32_e32 v70, v65, v71
	v_sub_f32_e32 v74, v52, v66
	;; [unrolled: 1-line block ×7, first 2 shown]
	v_add_f32_e32 v132, v42, v44
	v_fma_f32 v44, -0.5, v43, v32
	v_add_f32_e32 v133, v45, v46
	v_fma_f32 v46, -0.5, v47, v32
	;; [unrolled: 2-line block ×3, first 2 shown]
	v_fma_f32 v47, -0.5, v57, v33
	v_add_f32_e32 v55, v78, v48
	v_fma_f32 v32, -0.5, v111, v28
	v_fma_f32 v33, -0.5, v114, v29
	v_sub_f32_e32 v72, v67, v69
	v_sub_f32_e32 v52, v65, v67
	;; [unrolled: 1-line block ×7, first 2 shown]
	v_add_f32_e32 v134, v49, v50
	v_fma_f32 v48, -0.5, v95, v34
	v_add_f32_e32 v57, v103, v75
	v_fma_f32 v49, -0.5, v104, v35
	v_sub_f32_e32 v64, v67, v65
	v_sub_f32_e32 v65, v69, v71
	;; [unrolled: 1-line block ×3, first 2 shown]
	v_fma_f32 v34, -0.5, v100, v34
	v_fmac_f32_e32 v35, -0.5, v109
	v_sub_f32_e32 v102, v54, v68
	v_sub_f32_e32 v38, v62, v61
	v_sub_f32_e32 v112, v40, v36
	v_sub_f32_e32 v113, v30, v31
	v_sub_f32_e32 v41, v36, v31
	v_sub_f32_e32 v121, v63, v62
	v_sub_f32_e32 v131, v60, v61
	v_add_f32_e32 v78, v98, v99
	v_fmamk_f32 v50, v70, 0x3f737871, v44
	v_add_f32_e32 v69, v51, v69
	v_fmamk_f32 v51, v74, 0xbf737871, v45
	;; [unrolled: 2-line block ×3, first 2 shown]
	v_fmamk_f32 v55, v39, 0x3f737871, v33
	v_add_f32_e32 v135, v52, v56
	v_add_f32_e32 v67, v132, v53
	v_fmamk_f32 v52, v72, 0xbf737871, v46
	v_fmac_f32_e32 v46, 0x3f737871, v72
	v_fmamk_f32 v53, v76, 0x3f737871, v47
	v_fmac_f32_e32 v47, 0xbf737871, v76
	v_fmac_f32_e32 v44, 0xbf737871, v70
	;; [unrolled: 1-line block ×3, first 2 shown]
	v_sub_f32_e32 v107, v73, v75
	v_sub_f32_e32 v108, v79, v77
	;; [unrolled: 1-line block ×3, first 2 shown]
	v_fmamk_f32 v56, v96, 0x3f737871, v48
	v_add_f32_e32 v77, v57, v77
	v_fmamk_f32 v57, v105, 0xbf737871, v49
	v_sub_f32_e32 v73, v75, v73
	v_add_f32_e32 v136, v64, v65
	v_fmamk_f32 v64, v97, 0xbf737871, v34
	v_fmac_f32_e32 v34, 0x3f737871, v97
	v_fmamk_f32 v65, v106, 0x3f737871, v35
	v_fmac_f32_e32 v35, 0xbf737871, v106
	v_add_f32_e32 v43, v112, v113
	v_add_f32_e32 v42, v121, v131
	v_fmac_f32_e32 v48, 0xbf737871, v96
	v_fmac_f32_e32 v49, 0x3f737871, v105
	v_fmac_f32_e32 v50, 0x3f167918, v72
	v_fmac_f32_e32 v51, 0xbf167918, v76
	v_fmac_f32_e32 v54, 0xbf167918, v38
	v_fmac_f32_e32 v55, 0x3f167918, v41
	v_fmac_f32_e32 v52, 0x3f167918, v70
	v_fmac_f32_e32 v46, 0xbf167918, v70
	v_fmac_f32_e32 v53, 0xbf167918, v74
	v_fmac_f32_e32 v47, 0x3f167918, v74
	v_fmac_f32_e32 v44, 0xbf167918, v72
	v_fmac_f32_e32 v45, 0x3f167918, v76
	v_add_f32_e32 v75, v107, v108
	v_fmac_f32_e32 v56, 0x3f167918, v97
	v_fmac_f32_e32 v57, 0xbf167918, v106
	v_add_f32_e32 v95, v101, v102
	v_add_f32_e32 v73, v73, v110
	v_fmac_f32_e32 v64, 0x3f167918, v96
	v_fmac_f32_e32 v34, 0xbf167918, v96
	;; [unrolled: 1-line block ×4, first 2 shown]
	v_add_f32_e32 v66, v67, v66
	v_add_f32_e32 v67, v69, v71
	v_fmac_f32_e32 v48, 0xbf167918, v97
	v_fmac_f32_e32 v49, 0x3f167918, v106
	;; [unrolled: 1-line block ×12, first 2 shown]
	v_add_f32_e32 v68, v98, v68
	v_add_f32_e32 v69, v77, v79
	v_fmac_f32_e32 v56, 0x3e9e377a, v78
	v_fmac_f32_e32 v57, 0x3e9e377a, v75
	;; [unrolled: 1-line block ×8, first 2 shown]
	ds_write2_b64 v130, v[66:67], v[50:51] offset1:34
	ds_write2_b64 v130, v[52:53], v[46:47] offset0:68 offset1:102
	ds_write_b64 v130, v[44:45] offset:1088
	ds_write2_b64 v129, v[68:69], v[56:57] offset1:34
	ds_write2_b64 v129, v[64:65], v[34:35] offset0:68 offset1:102
	ds_write_b64 v129, v[48:49] offset:1088
	s_and_saveexec_b32 s1, s0
	s_cbranch_execz .LBB0_11
; %bb.10:
	v_mul_f32_e32 v44, 0x3f737871, v37
	v_mul_f32_e32 v47, 0x3f737871, v39
	v_add_f32_e32 v34, v63, v60
	v_mul_f32_e32 v45, 0x3f167918, v38
	v_mul_f32_e32 v48, 0x3f167918, v41
	v_add_f32_e32 v32, v32, v44
	v_sub_f32_e32 v33, v33, v47
	v_fma_f32 v35, -0.5, v34, v29
	v_add_f32_e32 v34, v40, v30
	v_mul_f32_e32 v46, 0x3e9e377a, v43
	v_mul_f32_e32 v51, 0x3e9e377a, v42
	v_sub_f32_e32 v52, v36, v40
	v_sub_f32_e32 v33, v33, v48
	v_add_f32_e32 v32, v45, v32
	v_add_f32_e32 v45, v29, v63
	;; [unrolled: 1-line block ×3, first 2 shown]
	v_sub_f32_e32 v49, v62, v63
	v_sub_f32_e32 v50, v61, v60
	v_fma_f32 v34, -0.5, v34, v28
	v_add_f32_e32 v29, v51, v33
	v_add_f32_e32 v28, v46, v32
	;; [unrolled: 1-line block ×4, first 2 shown]
	v_mul_u32_u24_sdwa v36, v119, v59 dst_sel:DWORD dst_unused:UNUSED_PAD src0_sel:WORD_0 src1_sel:DWORD
	v_fmamk_f32 v43, v41, 0x3f737871, v35
	v_add_f32_e32 v49, v49, v50
	v_sub_f32_e32 v50, v31, v30
	v_fmamk_f32 v42, v38, 0xbf737871, v34
	v_fmac_f32_e32 v35, 0xbf737871, v41
	v_fmac_f32_e32 v34, 0x3f737871, v38
	v_add_f32_e32 v32, v32, v61
	v_add_f32_e32 v33, v33, v31
	v_add_nc_u32_sdwa v36, v36, v120 dst_sel:DWORD dst_unused:UNUSED_PAD src0_sel:DWORD src1_sel:BYTE_0
	v_fmac_f32_e32 v43, 0xbf167918, v39
	v_add_f32_e32 v44, v52, v50
	v_fmac_f32_e32 v42, 0x3f167918, v37
	v_fmac_f32_e32 v35, 0x3f167918, v39
	;; [unrolled: 1-line block ×3, first 2 shown]
	v_add_f32_e32 v31, v32, v60
	v_add_f32_e32 v30, v33, v30
	v_add_lshl_u32 v32, v58, v36, 3
	v_fmac_f32_e32 v43, 0x3e9e377a, v49
	v_fmac_f32_e32 v42, 0x3e9e377a, v44
	;; [unrolled: 1-line block ×4, first 2 shown]
	ds_write2_b64 v32, v[30:31], v[28:29] offset1:34
	ds_write2_b64 v32, v[42:43], v[34:35] offset0:68 offset1:102
	ds_write_b64 v32, v[54:55] offset:1088
.LBB0_11:
	s_or_b32 exec_lo, exec_lo, s1
	v_mad_u64_u32 v[32:33], null, v116, 48, s[2:3]
	s_waitcnt lgkmcnt(0)
	s_barrier
	buffer_gl0_inv
	v_add_nc_u32_e32 v52, 0x800, v118
	v_add_nc_u32_e32 v53, 0xc00, v118
	v_add_nc_u32_e32 v68, 0x1000, v118
	v_add_co_u32 v34, s1, 0x1000, v32
	v_add_co_ci_u32_e64 v35, s1, 0, v33, s1
	s_clause 0x2
	global_load_dwordx4 v[44:47], v[32:33], off offset:1224
	global_load_dwordx4 v[40:43], v[32:33], off offset:1240
	;; [unrolled: 1-line block ×3, first 2 shown]
	v_add_co_u32 v32, s1, 0x14b8, v32
	v_add_co_ci_u32_e64 v33, s1, 0, v33, s1
	s_clause 0x2
	global_load_dwordx4 v[48:51], v[34:35], off offset:1208
	global_load_dwordx4 v[36:39], v[32:33], off offset:16
	;; [unrolled: 1-line block ×3, first 2 shown]
	ds_read2_b64 v[60:63], v52 offset0:84 offset1:169
	v_add_nc_u32_e32 v52, 0x1800, v118
	ds_read2_b64 v[64:67], v53 offset0:126 offset1:211
	v_add_nc_u32_e32 v53, 0x1c00, v118
	ds_read2_b64 v[56:59], v118 offset0:170 offset1:255
	ds_read2_b64 v[68:71], v68 offset0:168 offset1:253
	;; [unrolled: 1-line block ×4, first 2 shown]
	ds_read2_b64 v[101:104], v118 offset1:85
	v_lshl_add_u32 v121, v116, 3, v117
	v_add_nc_u32_e32 v97, 0x400, v121
	v_add_nc_u32_e32 v98, 0x800, v121
	;; [unrolled: 1-line block ×5, first 2 shown]
	s_waitcnt vmcnt(5) lgkmcnt(4)
	v_mul_f32_e32 v52, v57, v45
	v_mul_f32_e32 v53, v56, v45
	;; [unrolled: 1-line block ×4, first 2 shown]
	s_waitcnt vmcnt(4)
	v_mul_f32_e32 v106, v65, v41
	v_mul_f32_e32 v107, v64, v41
	s_waitcnt lgkmcnt(3)
	v_mul_f32_e32 v108, v69, v43
	v_mul_f32_e32 v109, v68, v43
	s_waitcnt vmcnt(3) lgkmcnt(2)
	v_mul_f32_e32 v110, v73, v29
	v_mul_f32_e32 v111, v72, v29
	s_waitcnt lgkmcnt(1)
	v_mul_f32_e32 v112, v77, v31
	v_mul_f32_e32 v113, v76, v31
	v_fma_f32 v52, v56, v44, -v52
	v_fmac_f32_e32 v53, v57, v44
	v_fma_f32 v56, v60, v46, -v95
	v_fmac_f32_e32 v96, v61, v46
	v_fma_f32 v57, v64, v40, -v106
	v_fmac_f32_e32 v107, v65, v40
	v_fma_f32 v60, v68, v42, -v108
	v_fmac_f32_e32 v109, v69, v42
	v_fma_f32 v61, v72, v28, -v110
	v_fmac_f32_e32 v111, v73, v28
	v_fma_f32 v64, v76, v30, -v112
	v_fmac_f32_e32 v113, v77, v30
	s_waitcnt vmcnt(2)
	v_mul_f32_e32 v65, v59, v49
	v_mul_f32_e32 v68, v58, v49
	v_mul_f32_e32 v69, v63, v51
	v_mul_f32_e32 v72, v62, v51
	s_waitcnt vmcnt(1)
	v_mul_f32_e32 v73, v67, v37
	v_mul_f32_e32 v76, v66, v37
	v_mul_f32_e32 v77, v71, v39
	v_mul_f32_e32 v95, v70, v39
	;; [unrolled: 5-line block ×3, first 2 shown]
	v_fma_f32 v58, v58, v48, -v65
	v_fmac_f32_e32 v68, v59, v48
	v_fma_f32 v59, v62, v50, -v69
	v_fmac_f32_e32 v72, v63, v50
	v_fma_f32 v62, v66, v36, -v73
	v_fmac_f32_e32 v76, v67, v36
	v_fma_f32 v63, v70, v38, -v77
	v_fmac_f32_e32 v95, v71, v38
	v_fma_f32 v65, v74, v32, -v106
	v_fmac_f32_e32 v108, v75, v32
	v_fma_f32 v66, v78, v34, -v110
	v_fmac_f32_e32 v112, v79, v34
	v_add_f32_e32 v67, v52, v64
	v_add_f32_e32 v69, v53, v113
	v_sub_f32_e32 v52, v52, v64
	v_add_f32_e32 v64, v56, v61
	v_add_f32_e32 v70, v96, v111
	v_sub_f32_e32 v56, v56, v61
	v_add_f32_e32 v71, v57, v60
	v_sub_f32_e32 v57, v60, v57
	v_sub_f32_e32 v53, v53, v113
	;; [unrolled: 1-line block ×3, first 2 shown]
	v_add_f32_e32 v73, v107, v109
	v_sub_f32_e32 v60, v109, v107
	v_add_f32_e32 v74, v64, v67
	v_add_f32_e32 v75, v70, v69
	v_add_f32_e32 v79, v57, v56
	v_sub_f32_e32 v106, v57, v56
	v_sub_f32_e32 v56, v56, v52
	v_add_f32_e32 v109, v58, v66
	v_add_f32_e32 v110, v68, v112
	v_sub_f32_e32 v58, v58, v66
	v_sub_f32_e32 v66, v68, v112
	v_add_f32_e32 v68, v59, v65
	v_add_f32_e32 v111, v72, v108
	v_sub_f32_e32 v77, v64, v67
	v_sub_f32_e32 v78, v70, v69
	;; [unrolled: 1-line block ×6, first 2 shown]
	v_add_f32_e32 v96, v60, v61
	v_sub_f32_e32 v107, v60, v61
	v_sub_f32_e32 v57, v52, v57
	;; [unrolled: 1-line block ×5, first 2 shown]
	v_add_f32_e32 v72, v62, v63
	v_add_f32_e32 v108, v76, v95
	v_sub_f32_e32 v62, v63, v62
	v_sub_f32_e32 v63, v95, v76
	v_add_f32_e32 v71, v71, v74
	v_add_f32_e32 v73, v73, v75
	v_mul_f32_e32 v76, 0xbf08b237, v106
	v_mul_f32_e32 v106, 0x3f5ff5aa, v56
	v_add_f32_e32 v112, v68, v109
	v_add_f32_e32 v113, v111, v110
	v_sub_f32_e32 v60, v53, v60
	v_add_f32_e32 v52, v79, v52
	v_add_f32_e32 v53, v96, v53
	v_mul_f32_e32 v67, 0x3f4a47b2, v67
	v_mul_f32_e32 v69, 0x3f4a47b2, v69
	;; [unrolled: 1-line block ×6, first 2 shown]
	v_sub_f32_e32 v114, v68, v109
	v_sub_f32_e32 v131, v111, v110
	;; [unrolled: 1-line block ×6, first 2 shown]
	v_add_f32_e32 v132, v62, v59
	v_add_f32_e32 v133, v63, v65
	v_sub_f32_e32 v134, v62, v59
	v_sub_f32_e32 v135, v63, v65
	;; [unrolled: 1-line block ×4, first 2 shown]
	s_waitcnt lgkmcnt(0)
	v_add_f32_e32 v95, v101, v71
	v_add_f32_e32 v96, v102, v73
	v_fmamk_f32 v101, v57, 0x3eae86e6, v76
	v_fma_f32 v136, 0x3f5ff5aa, v56, -v76
	v_fma_f32 v106, 0xbeae86e6, v57, -v106
	v_add_f32_e32 v56, v72, v112
	v_add_f32_e32 v57, v108, v113
	v_sub_f32_e32 v62, v58, v62
	v_sub_f32_e32 v63, v66, v63
	v_fmamk_f32 v64, v64, 0x3d64c772, v67
	v_fmamk_f32 v70, v70, 0x3d64c772, v69
	v_fma_f32 v74, 0x3f3bfb3b, v77, -v74
	v_fma_f32 v75, 0x3f3bfb3b, v78, -v75
	v_fma_f32 v67, 0xbf3bfb3b, v77, -v67
	v_fma_f32 v69, 0xbf3bfb3b, v78, -v69
	v_fmamk_f32 v102, v60, 0x3eae86e6, v79
	v_fma_f32 v78, 0x3f5ff5aa, v61, -v79
	v_fma_f32 v107, 0xbeae86e6, v60, -v107
	v_mul_f32_e32 v72, 0x3f4a47b2, v109
	v_mul_f32_e32 v76, 0x3f4a47b2, v110
	;; [unrolled: 1-line block ×8, first 2 shown]
	v_fmamk_f32 v71, v71, 0xbf955555, v95
	v_fmamk_f32 v73, v73, 0xbf955555, v96
	v_add_f32_e32 v60, v103, v56
	v_add_f32_e32 v61, v104, v57
	;; [unrolled: 1-line block ×4, first 2 shown]
	v_fmac_f32_e32 v101, 0x3ee1c552, v52
	v_fmac_f32_e32 v102, 0x3ee1c552, v53
	;; [unrolled: 1-line block ×6, first 2 shown]
	v_fmamk_f32 v52, v68, 0x3d64c772, v72
	v_fmamk_f32 v53, v111, 0x3d64c772, v76
	v_fma_f32 v68, 0x3f3bfb3b, v114, -v77
	v_fma_f32 v103, 0x3f3bfb3b, v131, -v79
	;; [unrolled: 1-line block ×4, first 2 shown]
	v_fmamk_f32 v113, v62, 0x3eae86e6, v108
	v_fmamk_f32 v114, v63, 0x3eae86e6, v109
	v_fma_f32 v108, 0x3f5ff5aa, v59, -v108
	v_fma_f32 v65, 0x3f5ff5aa, v65, -v109
	;; [unrolled: 1-line block ×4, first 2 shown]
	v_add_f32_e32 v62, v64, v71
	v_add_f32_e32 v63, v70, v73
	;; [unrolled: 1-line block ×4, first 2 shown]
	v_fmamk_f32 v71, v56, 0xbf955555, v60
	v_fmamk_f32 v112, v57, 0xbf955555, v61
	v_add_f32_e32 v70, v75, v73
	v_add_f32_e32 v69, v69, v73
	v_fmac_f32_e32 v113, 0x3ee1c552, v58
	v_fmac_f32_e32 v114, 0x3ee1c552, v66
	;; [unrolled: 1-line block ×6, first 2 shown]
	v_sub_f32_e32 v57, v63, v101
	v_add_f32_e32 v58, v107, v67
	v_sub_f32_e32 v76, v64, v78
	v_add_f32_e32 v78, v78, v64
	;; [unrolled: 2-line block ×3, first 2 shown]
	v_add_f32_e32 v52, v52, v71
	v_add_f32_e32 v53, v53, v112
	;; [unrolled: 1-line block ×7, first 2 shown]
	v_sub_f32_e32 v59, v69, v106
	v_add_f32_e32 v77, v136, v70
	v_sub_f32_e32 v79, v70, v136
	v_add_f32_e32 v73, v106, v69
	;; [unrolled: 2-line block ×4, first 2 shown]
	v_sub_f32_e32 v69, v67, v109
	v_sub_f32_e32 v70, v64, v65
	v_add_f32_e32 v71, v108, v101
	v_add_f32_e32 v64, v65, v64
	v_sub_f32_e32 v65, v101, v108
	v_sub_f32_e32 v66, v66, v110
	v_add_f32_e32 v67, v109, v67
	v_sub_f32_e32 v52, v52, v114
	v_add_f32_e32 v53, v113, v53
	ds_write_b64 v121, v[95:96]
	ds_write2_b64 v121, v[60:61], v[56:57] offset0:85 offset1:170
	ds_write2_b64 v97, v[62:63], v[58:59] offset0:127 offset1:212
	;; [unrolled: 1-line block ×6, first 2 shown]
	ds_write_b64 v121, v[52:53] offset:8840
	s_waitcnt lgkmcnt(0)
	s_barrier
	buffer_gl0_inv
	s_and_saveexec_b32 s2, vcc_lo
	s_cbranch_execz .LBB0_13
; %bb.12:
	v_add_co_u32 v109, s1, s12, v115
	v_add_co_ci_u32_e64 v110, null, s13, 0, s1
	v_add_nc_u32_e32 v182, 0xc00, v121
	v_add_co_u32 v101, s1, 0x2000, v109
	v_add_co_ci_u32_e64 v102, s1, 0, v110, s1
	v_add_co_u32 v103, s1, 0x2530, v109
	v_add_co_ci_u32_e64 v104, s1, 0, v110, s1
	global_load_dwordx2 v[101:102], v[101:102], off offset:1328
	v_add_co_u32 v105, s1, 0x2800, v109
	v_add_co_ci_u32_e64 v106, s1, 0, v110, s1
	v_add_co_u32 v107, s1, 0x3000, v109
	v_add_co_ci_u32_e64 v108, s1, 0, v110, s1
	s_clause 0x3
	global_load_dwordx2 v[113:114], v[103:104], off offset:560
	global_load_dwordx2 v[151:152], v[103:104], off offset:1120
	;; [unrolled: 1-line block ×4, first 2 shown]
	v_add_co_u32 v103, s1, 0x3800, v109
	v_add_co_ci_u32_e64 v104, s1, 0, v110, s1
	v_add_co_u32 v105, s1, 0x4000, v109
	v_add_co_ci_u32_e64 v106, s1, 0, v110, s1
	s_clause 0x8
	global_load_dwordx2 v[157:158], v[107:108], off offset:32
	global_load_dwordx2 v[159:160], v[107:108], off offset:592
	;; [unrolled: 1-line block ×9, first 2 shown]
	v_add_co_u32 v103, s1, 0x4800, v109
	v_add_co_ci_u32_e64 v104, s1, 0, v110, s1
	s_clause 0x2
	global_load_dwordx2 v[175:176], v[105:106], off offset:976
	global_load_dwordx2 v[177:178], v[105:106], off offset:1536
	;; [unrolled: 1-line block ×3, first 2 shown]
	ds_read_b64 v[103:104], v121
	v_add_nc_u32_e32 v183, 0x2000, v121
	s_waitcnt vmcnt(16) lgkmcnt(0)
	v_mul_f32_e32 v105, v104, v102
	v_mul_f32_e32 v106, v103, v102
	v_fma_f32 v105, v103, v101, -v105
	v_fmac_f32_e32 v106, v104, v101
	ds_write_b64 v121, v[105:106]
	ds_read2_b64 v[101:104], v121 offset0:70 offset1:140
	ds_read2_b64 v[105:108], v97 offset0:82 offset1:152
	ds_read2_b64 v[109:112], v98 offset0:94 offset1:164
	ds_read2_b64 v[131:134], v182 offset0:106 offset1:176
	ds_read2_b64 v[135:138], v99 offset0:118 offset1:188
	ds_read2_b64 v[139:142], v100 offset0:2 offset1:72
	ds_read2_b64 v[143:146], v100 offset0:142 offset1:212
	ds_read2_b64 v[147:150], v183 offset0:26 offset1:96
	s_waitcnt vmcnt(7) lgkmcnt(3)
	v_mul_f32_e32 v192, v136, v166
	v_mul_f32_e32 v184, v102, v114
	v_mul_f32_e32 v181, v101, v114
	v_mul_f32_e32 v185, v104, v152
	v_mul_f32_e32 v114, v103, v152
	v_mul_f32_e32 v186, v106, v154
	v_mul_f32_e32 v152, v105, v154
	v_mul_f32_e32 v187, v108, v156
	v_mul_f32_e32 v154, v107, v156
	v_mul_f32_e32 v188, v110, v158
	v_mul_f32_e32 v156, v109, v158
	v_mul_f32_e32 v189, v112, v160
	v_mul_f32_e32 v158, v111, v160
	v_mul_f32_e32 v190, v132, v162
	v_mul_f32_e32 v160, v131, v162
	v_mul_f32_e32 v191, v134, v164
	v_mul_f32_e32 v162, v133, v164
	v_mul_f32_e32 v164, v135, v166
	s_waitcnt vmcnt(6)
	v_mul_f32_e32 v193, v138, v168
	v_mul_f32_e32 v166, v137, v168
	s_waitcnt vmcnt(5) lgkmcnt(2)
	v_mul_f32_e32 v194, v140, v170
	v_mul_f32_e32 v168, v139, v170
	s_waitcnt vmcnt(4)
	v_mul_f32_e32 v195, v142, v172
	v_mul_f32_e32 v170, v141, v172
	s_waitcnt vmcnt(3) lgkmcnt(1)
	v_mul_f32_e32 v196, v144, v174
	v_mul_f32_e32 v172, v143, v174
	;; [unrolled: 6-line block ×3, first 2 shown]
	s_waitcnt vmcnt(0)
	v_mul_f32_e32 v199, v150, v180
	v_mul_f32_e32 v178, v149, v180
	v_fma_f32 v180, v101, v113, -v184
	v_fmac_f32_e32 v181, v102, v113
	v_fma_f32 v113, v103, v151, -v185
	v_fmac_f32_e32 v114, v104, v151
	;; [unrolled: 2-line block ×16, first 2 shown]
	ds_write2_b64 v121, v[180:181], v[113:114] offset0:70 offset1:140
	ds_write2_b64 v97, v[151:152], v[153:154] offset0:82 offset1:152
	;; [unrolled: 1-line block ×8, first 2 shown]
.LBB0_13:
	s_or_b32 exec_lo, exec_lo, s2
	s_waitcnt lgkmcnt(0)
	s_barrier
	buffer_gl0_inv
	s_and_saveexec_b32 s1, vcc_lo
	s_cbranch_execz .LBB0_15
; %bb.14:
	v_add_nc_u32_e32 v0, 0x2000, v121
	v_add_nc_u32_e32 v52, 0x400, v121
	;; [unrolled: 1-line block ×5, first 2 shown]
	ds_read_b64 v[95:96], v121
	ds_read2_b64 v[56:59], v121 offset0:70 offset1:140
	v_add_nc_u32_e32 v97, 0x1800, v121
	ds_read2_b64 v[0:3], v0 offset0:26 offset1:96
	ds_read2_b64 v[76:79], v52 offset0:82 offset1:152
	;; [unrolled: 1-line block ×7, first 2 shown]
.LBB0_15:
	s_or_b32 exec_lo, exec_lo, s1
	s_waitcnt lgkmcnt(6)
	v_sub_f32_e32 v147, v57, v3
	v_add_f32_e32 v156, v3, v57
	v_add_f32_e32 v131, v2, v56
	v_sub_f32_e32 v136, v56, v2
	v_sub_f32_e32 v149, v59, v1
	v_mul_f32_e32 v163, 0xbf65296c, v147
	v_mul_f32_e32 v168, 0x3ee437d1, v156
	v_add_f32_e32 v158, v1, v59
	v_add_f32_e32 v132, v0, v58
	v_sub_f32_e32 v133, v58, v0
	v_fma_f32 v97, 0x3ee437d1, v131, -v163
	v_fmamk_f32 v98, v136, 0xbf65296c, v168
	v_mul_f32_e32 v165, 0xbf4c4adb, v149
	v_mul_f32_e32 v170, 0xbf1a4643, v158
	s_waitcnt lgkmcnt(0)
	v_sub_f32_e32 v148, v77, v55
	v_add_f32_e32 v159, v55, v77
	v_add_f32_e32 v97, v95, v97
	v_add_f32_e32 v98, v96, v98
	v_fma_f32 v99, 0xbf1a4643, v132, -v165
	v_fmamk_f32 v100, v133, 0xbf4c4adb, v170
	v_add_f32_e32 v134, v54, v76
	v_mul_f32_e32 v164, 0x3e3c28d5, v148
	v_sub_f32_e32 v135, v76, v54
	v_mul_f32_e32 v173, 0xbf7ba420, v159
	v_sub_f32_e32 v150, v79, v53
	v_add_f32_e32 v160, v53, v79
	v_add_f32_e32 v97, v99, v97
	v_add_f32_e32 v98, v100, v98
	v_fma_f32 v99, 0xbf7ba420, v134, -v164
	v_fmamk_f32 v100, v135, 0x3e3c28d5, v173
	v_add_f32_e32 v137, v52, v78
	v_sub_f32_e32 v138, v78, v52
	v_mul_f32_e32 v166, 0x3f763a35, v150
	v_mul_f32_e32 v175, 0xbe8c1d8e, v160
	v_sub_f32_e32 v151, v73, v67
	v_add_f32_e32 v161, v67, v73
	v_add_f32_e32 v97, v99, v97
	v_add_f32_e32 v98, v100, v98
	v_fma_f32 v99, 0xbe8c1d8e, v137, -v166
	v_fmamk_f32 v100, v138, 0x3f763a35, v175
	v_add_f32_e32 v139, v66, v72
	v_mul_f32_e32 v167, 0x3f2c7751, v151
	v_sub_f32_e32 v140, v72, v66
	v_mul_f32_e32 v177, 0x3f3d2fb0, v161
	v_sub_f32_e32 v152, v75, v65
	v_add_f32_e32 v162, v65, v75
	v_add_f32_e32 v97, v99, v97
	v_add_f32_e32 v98, v100, v98
	v_fma_f32 v99, 0x3f3d2fb0, v139, -v167
	v_fmamk_f32 v100, v140, 0x3f2c7751, v177
	v_add_f32_e32 v141, v64, v74
	v_sub_f32_e32 v142, v74, v64
	v_mul_f32_e32 v169, 0xbeb8f4ab, v152
	v_mul_f32_e32 v174, 0x3f6eb680, v162
	;; [unrolled: 20-line block ×3, first 2 shown]
	v_add_f32_e32 v97, v99, v97
	v_add_f32_e32 v98, v100, v98
	v_fma_f32 v99, 0xbf59a7d5, v145, -v171
	v_fmamk_f32 v100, v146, 0xbf06c442, v178
	s_barrier
	buffer_gl0_inv
	v_add_f32_e32 v97, v99, v97
	v_add_f32_e32 v98, v100, v98
	s_and_saveexec_b32 s1, vcc_lo
	s_cbranch_execz .LBB0_17
; %bb.16:
	v_mul_f32_e32 v111, 0xbf763a35, v136
	v_mul_f32_e32 v112, 0x3f06c442, v133
	v_mul_f32_e32 v198, 0x3f2c7751, v135
	v_mul_f32_e32 v199, 0xbf65296c, v138
	v_mul_f32_e32 v200, 0xbe3c28d5, v140
	v_fmamk_f32 v99, v156, 0xbe8c1d8e, v111
	v_fmamk_f32 v100, v158, 0xbf59a7d5, v112
	;; [unrolled: 1-line block ×3, first 2 shown]
	v_mul_f32_e32 v201, 0xbf763a35, v147
	v_mul_f32_e32 v202, 0x3f7ee86f, v142
	v_add_f32_e32 v99, v96, v99
	v_mul_f32_e32 v114, 0x3f06c442, v149
	v_mul_f32_e32 v113, 0xbeb8f4ab, v144
	;; [unrolled: 1-line block ×4, first 2 shown]
	v_add_f32_e32 v99, v100, v99
	v_fmamk_f32 v100, v160, 0x3ee437d1, v199
	v_fma_f32 v102, 0xbf59a7d5, v132, -v114
	v_mul_f32_e32 v109, 0xbf4c4adb, v136
	v_mul_f32_e32 v203, 0xbe3c28d5, v151
	v_add_f32_e32 v99, v101, v99
	v_fma_f32 v101, 0xbe8c1d8e, v131, -v201
	v_mul_f32_e32 v110, 0x3f763a35, v133
	v_mul_f32_e32 v205, 0x3f7ee86f, v152
	;; [unrolled: 1-line block ×3, first 2 shown]
	v_add_f32_e32 v99, v100, v99
	v_fmamk_f32 v100, v161, 0xbf7ba420, v200
	v_add_f32_e32 v101, v95, v101
	v_fmamk_f32 v103, v158, 0xbe8c1d8e, v110
	v_mul_f32_e32 v204, 0xbf4c4adb, v146
	v_mul_f32_e32 v197, 0xbeb8f4ab, v153
	v_add_f32_e32 v99, v100, v99
	v_fmamk_f32 v100, v162, 0x3dbcf732, v202
	v_add_f32_e32 v101, v102, v101
	v_fma_f32 v102, 0x3f3d2fb0, v134, -v195
	v_mul_f32_e32 v207, 0xbf06c442, v138
	v_fmamk_f32 v104, v155, 0xbf1a4643, v204
	v_add_f32_e32 v99, v100, v99
	v_fmamk_f32 v100, v157, 0x3f6eb680, v113
	v_fma_f32 v105, 0x3f6eb680, v143, -v197
	v_mul_f32_e32 v208, 0x3f7ee86f, v140
	v_mul_f32_e32 v209, 0xbf4c4adb, v147
	;; [unrolled: 1-line block ×3, first 2 shown]
	v_add_f32_e32 v99, v100, v99
	v_add_f32_e32 v100, v102, v101
	v_fma_f32 v101, 0x3ee437d1, v137, -v196
	v_fmamk_f32 v102, v156, 0xbf1a4643, v109
	v_mul_f32_e32 v212, 0x3f763a35, v149
	v_mul_f32_e32 v213, 0xbe3c28d5, v144
	;; [unrolled: 1-line block ×3, first 2 shown]
	v_add_f32_e32 v100, v101, v100
	v_fma_f32 v101, 0xbf7ba420, v139, -v203
	v_add_f32_e32 v102, v96, v102
	v_mul_f32_e32 v215, 0xbf06c442, v150
	v_mul_f32_e32 v211, 0xbf4c4adb, v154
	;; [unrolled: 1-line block ×3, first 2 shown]
	v_add_f32_e32 v100, v101, v100
	v_fma_f32 v101, 0x3dbcf732, v141, -v205
	v_add_f32_e32 v102, v103, v102
	v_fmamk_f32 v103, v159, 0x3f6eb680, v206
	v_mul_f32_e32 v216, 0x3f7ee86f, v151
	v_mul_f32_e32 v108, 0x3f65296c, v133
	v_add_f32_e32 v101, v101, v100
	v_add_f32_e32 v100, v104, v99
	;; [unrolled: 1-line block ×3, first 2 shown]
	v_fmamk_f32 v103, v160, 0xbf59a7d5, v207
	v_fma_f32 v104, 0xbe8c1d8e, v132, -v212
	v_add_f32_e32 v99, v105, v101
	v_fma_f32 v105, 0xbf1a4643, v145, -v211
	v_mul_f32_e32 v218, 0xbf2c7751, v152
	v_add_f32_e32 v101, v103, v102
	v_fmamk_f32 v102, v161, 0x3dbcf732, v208
	v_fma_f32 v103, 0xbf1a4643, v131, -v209
	v_add_f32_e32 v99, v105, v99
	v_mul_f32_e32 v217, 0x3f65296c, v146
	v_fmamk_f32 v105, v158, 0x3ee437d1, v108
	v_add_f32_e32 v101, v102, v101
	v_fmamk_f32 v102, v162, 0x3f3d2fb0, v210
	v_add_f32_e32 v103, v95, v103
	v_mul_f32_e32 v219, 0xbf7ee86f, v135
	v_mul_f32_e32 v220, 0xbe3c28d5, v153
	;; [unrolled: 1-line block ×3, first 2 shown]
	v_add_f32_e32 v101, v102, v101
	v_fmamk_f32 v102, v157, 0xbf7ba420, v213
	v_add_f32_e32 v103, v104, v103
	v_fma_f32 v104, 0x3f6eb680, v134, -v214
	v_fmamk_f32 v106, v155, 0x3ee437d1, v217
	v_fma_f32 v222, 0xbf7ba420, v143, -v220
	v_add_f32_e32 v101, v102, v101
	v_mul_f32_e32 v223, 0xbeb8f4ab, v140
	v_add_f32_e32 v102, v104, v103
	v_fma_f32 v103, 0xbf59a7d5, v137, -v215
	v_fmamk_f32 v104, v156, 0xbf59a7d5, v107
	v_mul_f32_e32 v224, 0xbe3c28d5, v142
	v_mul_f32_e32 v226, 0x3f65296c, v149
	;; [unrolled: 1-line block ×3, first 2 shown]
	v_add_f32_e32 v102, v103, v102
	v_fma_f32 v103, 0x3dbcf732, v139, -v216
	v_add_f32_e32 v104, v96, v104
	v_mul_f32_e32 v227, 0x3f2c7751, v144
	v_mul_f32_e32 v228, 0xbf7ee86f, v148
	v_fma_f32 v229, 0x3ee437d1, v145, -v225
	v_add_f32_e32 v102, v103, v102
	v_fma_f32 v103, 0x3f3d2fb0, v141, -v218
	v_add_f32_e32 v104, v105, v104
	v_fmamk_f32 v105, v159, 0x3dbcf732, v219
	v_mul_f32_e32 v230, 0x3f4c4adb, v150
	v_mul_f32_e32 v231, 0xbeb8f4ab, v151
	v_add_f32_e32 v103, v103, v102
	v_add_f32_e32 v102, v106, v101
	;; [unrolled: 1-line block ×3, first 2 shown]
	v_fmamk_f32 v105, v160, 0xbf1a4643, v221
	v_fma_f32 v106, 0x3ee437d1, v132, -v226
	v_add_f32_e32 v101, v222, v103
	v_mul_f32_e32 v222, 0xbf06c442, v147
	v_mul_f32_e32 v233, 0x3eb8f4ab, v133
	v_add_f32_e32 v103, v105, v104
	v_fmamk_f32 v104, v161, 0x3f6eb680, v223
	v_add_f32_e32 v101, v229, v101
	v_fma_f32 v105, 0xbf59a7d5, v131, -v222
	v_mul_f32_e32 v229, 0xbe3c28d5, v136
	v_mul_f32_e32 v234, 0xbe3c28d5, v152
	v_add_f32_e32 v103, v104, v103
	v_fmamk_f32 v104, v162, 0xbf7ba420, v224
	v_add_f32_e32 v105, v95, v105
	v_mul_f32_e32 v232, 0xbf763a35, v146
	v_fmamk_f32 v235, v158, 0x3f6eb680, v233
	v_mul_f32_e32 v236, 0xbf06c442, v135
	v_add_f32_e32 v103, v104, v103
	v_fmamk_f32 v104, v157, 0x3f3d2fb0, v227
	v_add_f32_e32 v105, v106, v105
	v_fma_f32 v106, 0x3dbcf732, v134, -v228
	v_mul_f32_e32 v237, 0x3f2c7751, v153
	v_mul_f32_e32 v238, 0x3f2c7751, v138
	v_add_f32_e32 v103, v104, v103
	v_fmamk_f32 v239, v155, 0xbe8c1d8e, v232
	v_add_f32_e32 v104, v106, v105
	v_fma_f32 v105, 0xbf1a4643, v137, -v230
	v_fmamk_f32 v106, v156, 0xbf7ba420, v229
	v_fma_f32 v240, 0x3f3d2fb0, v143, -v237
	v_mul_f32_e32 v241, 0xbf4c4adb, v140
	v_mul_f32_e32 v243, 0x3eb8f4ab, v149
	v_add_f32_e32 v104, v105, v104
	v_fma_f32 v105, 0x3f6eb680, v139, -v231
	v_add_f32_e32 v106, v96, v106
	v_mul_f32_e32 v244, 0xbf763a35, v144
	v_fma_f32 v245, 0x3f6eb680, v132, -v243
	v_mul_f32_e32 v246, 0xbf06c442, v148
	v_add_f32_e32 v104, v105, v104
	v_fma_f32 v105, 0xbf7ba420, v141, -v234
	v_add_f32_e32 v106, v235, v106
	v_fmamk_f32 v235, v159, 0xbf59a7d5, v236
	v_mul_f32_e32 v248, 0x3f2c7751, v150
	v_fma_f32 v229, 0xbf7ba420, v156, -v229
	v_add_f32_e32 v105, v105, v104
	v_add_f32_e32 v104, v239, v103
	;; [unrolled: 1-line block ×3, first 2 shown]
	v_fmamk_f32 v235, v160, 0x3f3d2fb0, v238
	v_mul_f32_e32 v239, 0x3f65296c, v142
	v_add_f32_e32 v103, v240, v105
	v_mul_f32_e32 v105, 0xbe3c28d5, v147
	v_add_f32_e32 v229, v96, v229
	v_add_f32_e32 v106, v235, v106
	v_fmamk_f32 v235, v161, 0xbf1a4643, v241
	v_fma_f32 v233, 0x3f6eb680, v158, -v233
	v_fma_f32 v242, 0xbf7ba420, v131, -v105
	v_mul_f32_e32 v249, 0x3f65296c, v152
	v_fmac_f32_e32 v105, 0xbf7ba420, v131
	v_add_f32_e32 v106, v235, v106
	v_fmamk_f32 v235, v162, 0x3ee437d1, v239
	v_add_f32_e32 v242, v95, v242
	v_add_f32_e32 v229, v233, v229
	v_fma_f32 v233, 0xbf59a7d5, v159, -v236
	v_fma_f32 v236, 0x3ee437d1, v141, -v249
	v_add_f32_e32 v106, v235, v106
	v_fmamk_f32 v235, v157, 0xbe8c1d8e, v244
	v_add_f32_e32 v242, v245, v242
	v_fma_f32 v245, 0xbf59a7d5, v134, -v246
	v_add_f32_e32 v229, v233, v229
	v_fma_f32 v233, 0x3f3d2fb0, v160, -v238
	v_add_f32_e32 v106, v235, v106
	v_mul_f32_e32 v238, 0x3f7ee86f, v154
	v_add_f32_e32 v235, v245, v242
	v_fma_f32 v242, 0x3f3d2fb0, v137, -v248
	v_mul_f32_e32 v245, 0xbf4c4adb, v151
	v_add_f32_e32 v229, v233, v229
	v_fma_f32 v233, 0xbf1a4643, v161, -v241
	v_add_f32_e32 v241, v95, v105
	v_add_f32_e32 v235, v242, v235
	v_fma_f32 v242, 0xbf1a4643, v139, -v245
	v_fmac_f32_e32 v243, 0x3f6eb680, v132
	v_fma_f32 v107, 0xbf59a7d5, v156, -v107
	v_fmac_f32_e32 v246, 0xbf59a7d5, v134
	v_fma_f32 v108, 0x3ee437d1, v158, -v108
	v_add_f32_e32 v235, v242, v235
	v_mul_f32_e32 v242, 0xbf763a35, v153
	v_add_f32_e32 v107, v96, v107
	v_fmac_f32_e32 v248, 0x3f3d2fb0, v137
	v_fma_f32 v219, 0x3dbcf732, v159, -v219
	v_add_f32_e32 v235, v236, v235
	v_fma_f32 v236, 0xbe8c1d8e, v143, -v242
	v_add_f32_e32 v107, v108, v107
	v_fmac_f32_e32 v245, 0xbf1a4643, v139
	v_fmac_f32_e32 v222, 0xbf59a7d5, v131
	;; [unrolled: 1-line block ×3, first 2 shown]
	v_add_f32_e32 v235, v236, v235
	v_fma_f32 v236, 0x3dbcf732, v145, -v238
	v_add_f32_e32 v107, v219, v107
	v_fma_f32 v219, 0xbf1a4643, v160, -v221
	v_add_f32_e32 v222, v95, v222
	v_fmac_f32_e32 v226, 0x3ee437d1, v132
	v_add_f32_e32 v105, v236, v235
	v_add_f32_e32 v235, v243, v241
	v_add_f32_e32 v107, v219, v107
	v_fma_f32 v219, 0x3f6eb680, v161, -v223
	v_fmac_f32_e32 v242, 0xbe8c1d8e, v143
	v_add_f32_e32 v222, v226, v222
	v_add_f32_e32 v235, v246, v235
	v_fmac_f32_e32 v228, 0x3dbcf732, v134
	v_add_f32_e32 v107, v219, v107
	v_fma_f32 v219, 0xbf7ba420, v162, -v224
	v_fmac_f32_e32 v238, 0x3dbcf732, v145
	v_add_f32_e32 v235, v248, v235
	v_add_f32_e32 v222, v228, v222
	v_fmac_f32_e32 v230, 0xbf1a4643, v137
	v_add_f32_e32 v219, v219, v107
	v_fma_f32 v223, 0x3f3d2fb0, v157, -v227
	v_add_f32_e32 v221, v245, v235
	v_fma_f32 v109, 0xbf1a4643, v156, -v109
	v_fmac_f32_e32 v231, 0x3f6eb680, v139
	v_fmac_f32_e32 v234, 0xbf7ba420, v141
	v_add_f32_e32 v219, v223, v219
	v_add_f32_e32 v221, v249, v221
	;; [unrolled: 1-line block ×3, first 2 shown]
	v_fma_f32 v223, 0xbe8c1d8e, v158, -v110
	v_fmac_f32_e32 v209, 0xbf1a4643, v131
	v_mul_f32_e32 v240, 0xbf763a35, v154
	v_add_f32_e32 v221, v242, v221
	v_fma_f32 v206, 0x3f6eb680, v159, -v206
	v_add_f32_e32 v109, v223, v109
	v_fmac_f32_e32 v237, 0x3f3d2fb0, v143
	v_add_f32_e32 v209, v95, v209
	v_add_f32_e32 v107, v238, v221
	;; [unrolled: 1-line block ×3, first 2 shown]
	v_fma_f32 v222, 0xbe8c1d8e, v155, -v232
	v_fmac_f32_e32 v212, 0xbe8c1d8e, v132
	v_fma_f32 v247, 0xbe8c1d8e, v145, -v240
	v_add_f32_e32 v109, v206, v109
	v_add_f32_e32 v221, v231, v221
	v_add_f32_e32 v110, v222, v219
	v_fma_f32 v206, 0xbf59a7d5, v160, -v207
	v_fmac_f32_e32 v240, 0xbe8c1d8e, v145
	v_add_f32_e32 v209, v212, v209
	v_add_f32_e32 v219, v234, v221
	v_fmac_f32_e32 v214, 0x3f6eb680, v134
	v_add_f32_e32 v206, v206, v109
	v_fma_f32 v111, 0xbe8c1d8e, v156, -v111
	v_fmac_f32_e32 v215, 0xbf59a7d5, v137
	v_add_f32_e32 v207, v237, v219
	v_fma_f32 v112, 0xbf59a7d5, v158, -v112
	v_fmac_f32_e32 v216, 0x3dbcf732, v139
	v_add_f32_e32 v111, v96, v111
	v_fmac_f32_e32 v218, 0x3f3d2fb0, v141
	v_add_f32_e32 v109, v240, v207
	v_add_f32_e32 v207, v214, v209
	v_fma_f32 v199, 0x3ee437d1, v160, -v199
	v_add_f32_e32 v111, v112, v111
	v_fma_f32 v112, 0x3f3d2fb0, v159, -v198
	v_fmac_f32_e32 v220, 0xbf7ba420, v143
	v_add_f32_e32 v207, v215, v207
	v_fmac_f32_e32 v201, 0xbe8c1d8e, v131
	v_fmac_f32_e32 v225, 0x3ee437d1, v145
	v_add_f32_e32 v111, v112, v111
	v_fmac_f32_e32 v114, 0xbf59a7d5, v132
	v_add_f32_e32 v198, v216, v207
	v_fmac_f32_e32 v195, 0x3f3d2fb0, v134
	v_fma_f32 v113, 0x3f6eb680, v157, -v113
	v_add_f32_e32 v111, v199, v111
	v_fma_f32 v199, 0xbf7ba420, v161, -v200
	v_add_f32_e32 v198, v218, v198
	v_add_f32_e32 v200, v95, v201
	v_fma_f32 v201, 0x3dbcf732, v162, -v202
	v_fmac_f32_e32 v196, 0x3ee437d1, v137
	v_add_f32_e32 v199, v199, v111
	v_add_f32_e32 v198, v220, v198
	;; [unrolled: 1-line block ×3, first 2 shown]
	v_fma_f32 v208, 0x3dbcf732, v161, -v208
	v_fmac_f32_e32 v203, 0xbf7ba420, v139
	v_add_f32_e32 v199, v201, v199
	v_add_f32_e32 v111, v225, v198
	v_mul_f32_e32 v198, 0x3dbcf732, v156
	v_mul_f32_e32 v201, 0xbf7ba420, v158
	v_add_f32_e32 v114, v195, v114
	v_add_f32_e32 v113, v113, v199
	v_add_f32_e32 v206, v208, v206
	v_fmamk_f32 v200, v136, 0x3f7ee86f, v198
	v_fmamk_f32 v199, v133, 0x3e3c28d5, v201
	v_add_f32_e32 v114, v196, v114
	v_fma_f32 v208, 0x3f3d2fb0, v162, -v210
	v_fma_f32 v196, 0xbf1a4643, v155, -v204
	v_add_f32_e32 v195, v96, v200
	v_mul_f32_e32 v200, 0xbe8c1d8e, v159
	v_add_f32_e32 v203, v203, v114
	v_fmac_f32_e32 v205, 0x3dbcf732, v141
	v_add_f32_e32 v206, v208, v206
	v_add_f32_e32 v195, v199, v195
	v_fmamk_f32 v199, v135, 0xbf763a35, v200
	v_fma_f32 v208, 0xbf7ba420, v157, -v213
	v_mul_f32_e32 v202, 0x3f6eb680, v160
	v_add_f32_e32 v114, v196, v113
	v_fmac_f32_e32 v197, 0x3f6eb680, v143
	v_add_f32_e32 v113, v199, v195
	v_add_f32_e32 v199, v205, v203
	v_mul_f32_e32 v203, 0xbf7ee86f, v147
	v_add_f32_e32 v206, v208, v206
	v_fma_f32 v207, 0x3ee437d1, v155, -v217
	v_fmamk_f32 v195, v138, 0xbeb8f4ab, v202
	v_mul_f32_e32 v196, 0x3ee437d1, v161
	v_add_f32_e32 v197, v197, v199
	v_fmamk_f32 v199, v131, 0x3dbcf732, v203
	v_mul_f32_e32 v205, 0xbe3c28d5, v149
	v_mul_f32_e32 v192, 0xbf65296c, v136
	v_add_f32_e32 v112, v207, v206
	v_add_f32_e32 v113, v195, v113
	v_fmamk_f32 v195, v140, 0x3f65296c, v196
	v_mul_f32_e32 v204, 0xbf59a7d5, v162
	v_add_f32_e32 v199, v95, v199
	v_fmamk_f32 v207, v132, 0xbf7ba420, v205
	v_mul_f32_e32 v208, 0x3f763a35, v148
	v_mul_f32_e32 v193, 0xbf4c4adb, v133
	v_add_f32_e32 v113, v195, v113
	v_fmamk_f32 v195, v142, 0x3f06c442, v204
	v_fmac_f32_e32 v211, 0xbf1a4643, v145
	v_add_f32_e32 v199, v207, v199
	v_fmamk_f32 v207, v134, 0xbe8c1d8e, v208
	v_mul_f32_e32 v210, 0x3eb8f4ab, v150
	v_sub_f32_e32 v168, v168, v192
	v_mul_f32_e32 v186, 0x3ee437d1, v131
	v_mul_f32_e32 v194, 0x3e3c28d5, v135
	v_add_f32_e32 v195, v195, v113
	v_add_f32_e32 v113, v211, v197
	v_add_f32_e32 v192, v207, v199
	v_fmamk_f32 v197, v137, 0x3f6eb680, v210
	v_mul_f32_e32 v199, 0xbf65296c, v151
	v_add_f32_e32 v168, v96, v168
	v_sub_f32_e32 v170, v170, v193
	v_mul_f32_e32 v185, 0xbf1a4643, v132
	v_mul_f32_e32 v191, 0x3f763a35, v138
	v_add_f32_e32 v192, v197, v192
	v_fmamk_f32 v193, v139, 0x3ee437d1, v199
	v_mul_f32_e32 v197, 0xbf06c442, v152
	v_add_f32_e32 v168, v170, v168
	v_sub_f32_e32 v170, v173, v194
	v_add_f32_e32 v163, v186, v163
	v_mul_f32_e32 v182, 0xbf7ba420, v134
	v_mul_f32_e32 v190, 0x3f2c7751, v140
	v_add_f32_e32 v173, v193, v192
	v_fmamk_f32 v193, v141, 0xbf59a7d5, v197
	v_mul_f32_e32 v194, 0x3f4c4adb, v153
	v_add_f32_e32 v168, v170, v168
	v_sub_f32_e32 v170, v175, v191
	v_add_f32_e32 v163, v95, v163
	v_add_f32_e32 v165, v185, v165
	v_mul_f32_e32 v183, 0xbe8c1d8e, v137
	v_mul_f32_e32 v187, 0xbeb8f4ab, v142
	v_add_f32_e32 v173, v193, v173
	v_fmamk_f32 v175, v143, 0xbf1a4643, v194
	v_mul_f32_e32 v186, 0x3f2c7751, v154
	v_add_f32_e32 v168, v170, v168
	v_sub_f32_e32 v170, v177, v190
	v_add_f32_e32 v163, v165, v163
	v_add_f32_e32 v164, v182, v164
	v_mul_f32_e32 v181, 0x3f3d2fb0, v139
	v_mul_f32_e32 v188, 0xbf7ee86f, v144
	v_add_f32_e32 v173, v175, v173
	v_fmamk_f32 v175, v145, 0x3f3d2fb0, v186
	v_add_f32_e32 v168, v170, v168
	v_sub_f32_e32 v174, v174, v187
	v_add_f32_e32 v163, v164, v163
	v_add_f32_e32 v164, v183, v166
	v_mul_f32_e32 v180, 0x3f6eb680, v141
	v_mul_f32_e32 v189, 0xbf06c442, v146
	;; [unrolled: 1-line block ×3, first 2 shown]
	v_add_f32_e32 v191, v175, v173
	v_add_f32_e32 v168, v174, v168
	v_sub_f32_e32 v175, v176, v188
	v_add_f32_e32 v163, v164, v163
	v_add_f32_e32 v164, v181, v167
	v_mul_f32_e32 v179, 0x3dbcf732, v143
	v_fmamk_f32 v165, v136, 0x3f2c7751, v170
	v_mul_f32_e32 v173, 0x3dbcf732, v158
	v_add_f32_e32 v168, v175, v168
	v_add_f32_e32 v163, v164, v163
	;; [unrolled: 1-line block ×3, first 2 shown]
	v_sub_f32_e32 v175, v178, v189
	v_mul_f32_e32 v184, 0xbf59a7d5, v145
	v_add_f32_e32 v165, v96, v165
	v_fmamk_f32 v166, v133, 0x3f7ee86f, v173
	v_mul_f32_e32 v174, 0xbf1a4643, v159
	v_add_f32_e32 v163, v164, v163
	v_add_f32_e32 v172, v179, v172
	;; [unrolled: 1-line block ×3, first 2 shown]
	v_mul_f32_e32 v168, 0xbf2c7751, v147
	v_add_f32_e32 v165, v166, v165
	v_fmamk_f32 v166, v135, 0x3f4c4adb, v174
	v_mul_f32_e32 v167, 0xbf7ba420, v160
	v_add_f32_e32 v163, v172, v163
	v_add_f32_e32 v171, v184, v171
	v_fmamk_f32 v175, v131, 0x3f3d2fb0, v168
	v_mul_f32_e32 v177, 0xbf7ee86f, v149
	v_add_f32_e32 v165, v166, v165
	v_fmamk_f32 v166, v138, 0x3e3c28d5, v167
	v_mul_f32_e32 v169, 0xbf59a7d5, v161
	v_add_f32_e32 v163, v171, v163
	v_add_f32_e32 v171, v95, v175
	v_fmamk_f32 v175, v132, 0x3dbcf732, v177
	v_mul_f32_e32 v178, 0xbf4c4adb, v148
	v_add_f32_e32 v165, v166, v165
	v_fmamk_f32 v166, v140, 0xbf06c442, v169
	v_mul_f32_e32 v176, 0xbe8c1d8e, v162
	;; [unrolled: 3-line block ×4, first 2 shown]
	v_mul_f32_e32 v156, 0x3f6eb680, v156
	v_mul_f32_e32 v182, 0x3f3d2fb0, v158
	v_add_f32_e32 v158, v175, v171
	v_fmamk_f32 v171, v137, 0xbf7ba420, v179
	v_mul_f32_e32 v175, 0x3f06c442, v151
	v_add_f32_e32 v57, v57, v96
	v_add_f32_e32 v165, v166, v165
	v_fmamk_f32 v166, v144, 0xbf65296c, v172
	v_fmamk_f32 v181, v136, 0x3eb8f4ab, v156
	v_mul_f32_e32 v184, 0x3ee437d1, v159
	v_add_f32_e32 v158, v171, v158
	v_fmamk_f32 v159, v139, 0xbf59a7d5, v175
	v_mul_f32_e32 v171, 0x3f763a35, v152
	v_add_f32_e32 v57, v59, v57
	v_add_f32_e32 v165, v166, v165
	v_mul_f32_e32 v166, 0x3f6eb680, v155
	v_add_f32_e32 v181, v96, v181
	v_fmamk_f32 v183, v133, 0x3f2c7751, v182
	v_add_f32_e32 v158, v159, v158
	v_fmamk_f32 v159, v141, 0xbe8c1d8e, v171
	v_mul_f32_e32 v185, 0x3f65296c, v153
	v_add_f32_e32 v57, v77, v57
	v_add_f32_e32 v56, v56, v95
	v_fmamk_f32 v180, v146, 0xbeb8f4ab, v166
	v_add_f32_e32 v181, v183, v181
	v_fmamk_f32 v183, v135, 0x3f65296c, v184
	v_mul_f32_e32 v160, 0x3dbcf732, v160
	v_add_f32_e32 v158, v159, v158
	v_fmamk_f32 v159, v143, 0x3ee437d1, v185
	v_mul_f32_e32 v147, 0xbeb8f4ab, v147
	v_add_f32_e32 v57, v79, v57
	v_add_f32_e32 v56, v58, v56
	;; [unrolled: 1-line block ×3, first 2 shown]
	v_fma_f32 v233, 0x3ee437d1, v162, -v239
	v_add_f32_e32 v181, v183, v181
	v_fmamk_f32 v183, v138, 0x3f7ee86f, v160
	v_mul_f32_e32 v161, 0xbe8c1d8e, v161
	v_add_f32_e32 v158, v159, v158
	v_add_f32_e32 v159, v180, v165
	v_fmamk_f32 v165, v131, 0x3f6eb680, v147
	v_mul_f32_e32 v149, 0xbf2c7751, v149
	v_add_f32_e32 v57, v73, v57
	v_add_f32_e32 v56, v76, v56
	;; [unrolled: 1-line block ×3, first 2 shown]
	v_fma_f32 v233, 0xbe8c1d8e, v157, -v244
	v_mul_f32_e32 v206, 0xbf1a4643, v157
	v_add_f32_e32 v181, v183, v181
	v_fmamk_f32 v183, v140, 0x3f763a35, v161
	v_mul_f32_e32 v162, 0xbf1a4643, v162
	v_mul_f32_e32 v77, 0xbf59a7d5, v157
	v_add_f32_e32 v157, v95, v165
	v_fmamk_f32 v165, v132, 0x3f3d2fb0, v149
	v_mul_f32_e32 v58, 0xbf65296c, v148
	v_add_f32_e32 v57, v75, v57
	v_add_f32_e32 v56, v78, v56
	;; [unrolled: 1-line block ×3, first 2 shown]
	v_fmamk_f32 v183, v142, 0x3f4c4adb, v162
	v_add_f32_e32 v148, v165, v157
	v_fmamk_f32 v73, v134, 0x3ee437d1, v58
	v_mul_f32_e32 v76, 0xbf7ee86f, v150
	v_add_f32_e32 v57, v61, v57
	v_add_f32_e32 v56, v72, v56
	;; [unrolled: 1-line block ×3, first 2 shown]
	v_fmamk_f32 v79, v144, 0x3f06c442, v77
	v_add_f32_e32 v73, v73, v148
	v_fmamk_f32 v75, v137, 0x3dbcf732, v76
	v_mul_f32_e32 v78, 0xbf763a35, v151
	v_mul_f32_e32 v61, 0xbf7ba420, v155
	v_add_f32_e32 v57, v63, v57
	v_add_f32_e32 v56, v74, v56
	;; [unrolled: 1-line block ×4, first 2 shown]
	v_fmamk_f32 v73, v139, 0xbe8c1d8e, v78
	v_mul_f32_e32 v63, 0xbf4c4adb, v152
	v_fmamk_f32 v74, v146, 0x3e3c28d5, v61
	v_add_f32_e32 v69, v69, v57
	v_add_f32_e32 v56, v60, v56
	;; [unrolled: 1-line block ×3, first 2 shown]
	v_fmamk_f32 v60, v141, 0xbf1a4643, v63
	v_mul_f32_e32 v73, 0xbf06c442, v153
	v_add_f32_e32 v57, v74, v59
	v_add_f32_e32 v59, v71, v69
	;; [unrolled: 1-line block ×4, first 2 shown]
	v_fmamk_f32 v62, v143, 0xbf59a7d5, v73
	v_mul_f32_e32 v69, 0xbe3c28d5, v154
	v_add_f32_e32 v59, v65, v59
	v_add_f32_e32 v56, v68, v56
	v_fmac_f32_e32 v198, 0xbf7ee86f, v136
	v_add_f32_e32 v60, v62, v60
	v_fmamk_f32 v62, v145, 0xbf7ba420, v69
	v_add_f32_e32 v59, v67, v59
	v_add_f32_e32 v65, v70, v56
	;; [unrolled: 1-line block ×3, first 2 shown]
	v_fmac_f32_e32 v201, 0xbe3c28d5, v133
	v_add_f32_e32 v56, v62, v60
	v_add_f32_e32 v53, v53, v59
	v_add_f32_e32 v59, v64, v65
	v_fma_f32 v60, 0x3dbcf732, v131, -v203
	v_add_f32_e32 v62, v201, v67
	v_fmac_f32_e32 v200, 0x3f763a35, v135
	v_add_f32_e32 v53, v55, v53
	v_add_f32_e32 v55, v66, v59
	v_add_f32_e32 v59, v95, v60
	v_fma_f32 v60, 0xbf7ba420, v132, -v205
	v_add_f32_e32 v62, v200, v62
	v_fmac_f32_e32 v202, 0x3eb8f4ab, v138
	v_add_f32_e32 v1, v1, v53
	v_add_f32_e32 v52, v52, v55
	v_add_f32_e32 v53, v60, v59
	v_fma_f32 v55, 0xbe8c1d8e, v134, -v208
	v_add_f32_e32 v59, v202, v62
	v_fmac_f32_e32 v196, 0xbf65296c, v140
	v_add_f32_e32 v1, v3, v1
	v_add_f32_e32 v3, v54, v52
	v_add_f32_e32 v52, v55, v53
	v_fma_f32 v53, 0x3f6eb680, v137, -v210
	v_add_f32_e32 v54, v196, v59
	v_fmac_f32_e32 v204, 0xbf06c442, v142
	v_fmac_f32_e32 v170, 0xbf2c7751, v136
	v_fmamk_f32 v209, v144, 0xbf4c4adb, v206
	v_add_f32_e32 v0, v0, v3
	v_add_f32_e32 v3, v53, v52
	v_fma_f32 v52, 0x3ee437d1, v139, -v199
	v_add_f32_e32 v53, v204, v54
	v_fmac_f32_e32 v206, 0x3f4c4adb, v144
	v_add_f32_e32 v54, v96, v170
	v_fmac_f32_e32 v173, 0xbf7ee86f, v133
	v_add_f32_e32 v3, v52, v3
	v_fma_f32 v52, 0xbf59a7d5, v141, -v197
	v_add_f32_e32 v0, v2, v0
	v_add_f32_e32 v2, v206, v53
	;; [unrolled: 1-line block ×3, first 2 shown]
	v_fmac_f32_e32 v174, 0xbf4c4adb, v135
	v_fma_f32 v54, 0x3f3d2fb0, v131, -v168
	v_mul_f32_e32 v207, 0x3f3d2fb0, v155
	v_add_f32_e32 v3, v52, v3
	v_fma_f32 v52, 0xbf1a4643, v143, -v194
	v_add_f32_e32 v53, v174, v53
	v_fmac_f32_e32 v167, 0xbe3c28d5, v138
	v_add_f32_e32 v54, v95, v54
	v_fma_f32 v55, 0x3dbcf732, v132, -v177
	v_add_f32_e32 v195, v209, v195
	v_fmamk_f32 v209, v146, 0xbf2c7751, v207
	v_fmac_f32_e32 v207, 0x3f2c7751, v146
	v_add_f32_e32 v52, v52, v3
	v_fma_f32 v59, 0x3f3d2fb0, v145, -v186
	v_add_f32_e32 v53, v167, v53
	v_fmac_f32_e32 v169, 0x3f06c442, v140
	v_add_f32_e32 v54, v55, v54
	v_fma_f32 v55, 0xbf1a4643, v134, -v178
	v_fmac_f32_e32 v156, 0xbeb8f4ab, v136
	v_add_f32_e32 v3, v207, v2
	v_add_f32_e32 v2, v59, v52
	;; [unrolled: 1-line block ×4, first 2 shown]
	v_fma_f32 v54, 0xbf7ba420, v137, -v179
	v_fma_f32 v55, 0x3f6eb680, v131, -v147
	v_add_f32_e32 v59, v96, v156
	v_fmac_f32_e32 v182, 0xbf2c7751, v133
	v_fmac_f32_e32 v184, 0xbf65296c, v135
	v_add_f32_e32 v53, v54, v53
	v_add_f32_e32 v54, v95, v55
	v_fma_f32 v55, 0x3f3d2fb0, v132, -v149
	v_add_f32_e32 v59, v182, v59
	v_fma_f32 v60, 0xbf59a7d5, v139, -v175
	v_fmac_f32_e32 v160, 0xbf7ee86f, v138
	v_fmac_f32_e32 v161, 0xbf763a35, v140
	v_add_f32_e32 v54, v55, v54
	v_fma_f32 v55, 0x3ee437d1, v134, -v58
	v_add_f32_e32 v58, v184, v59
	v_add_f32_e32 v53, v60, v53
	v_fma_f32 v59, 0xbe8c1d8e, v141, -v171
	v_fmac_f32_e32 v162, 0xbf4c4adb, v142
	v_add_f32_e32 v54, v55, v54
	v_fma_f32 v55, 0x3dbcf732, v137, -v76
	v_add_f32_e32 v58, v160, v58
	v_add_f32_e32 v53, v59, v53
	v_fma_f32 v59, 0x3ee437d1, v143, -v185
	v_fmac_f32_e32 v176, 0x3f763a35, v142
	v_add_f32_e32 v54, v55, v54
	v_fma_f32 v55, 0xbe8c1d8e, v139, -v78
	v_add_f32_e32 v58, v161, v58
	v_add_f32_e32 v59, v59, v53
	v_mul_f32_e32 v187, 0x3eb8f4ab, v154
	v_add_f32_e32 v103, v247, v103
	v_add_f32_e32 v54, v55, v54
	v_fma_f32 v55, 0xbf1a4643, v141, -v63
	v_add_f32_e32 v53, v162, v58
	v_mul_lo_u16 v58, v116, 17
	v_mul_f32_e32 v247, 0x3f7ee86f, v146
	v_add_f32_e32 v52, v176, v52
	v_fmac_f32_e32 v172, 0x3f65296c, v144
	v_fmac_f32_e32 v77, 0xbf06c442, v144
	v_add_f32_e32 v54, v55, v54
	v_fma_f32 v55, 0xbf59a7d5, v143, -v73
	v_and_b32_e32 v58, 0xffff, v58
	v_fmamk_f32 v188, v145, 0x3f6eb680, v187
	v_fmamk_f32 v250, v155, 0x3dbcf732, v247
	v_add_f32_e32 v229, v233, v229
	v_fma_f32 v233, 0x3dbcf732, v155, -v247
	v_add_f32_e32 v52, v172, v52
	v_fmac_f32_e32 v166, 0x3eb8f4ab, v146
	v_fma_f32 v60, 0x3f6eb680, v145, -v187
	v_add_f32_e32 v62, v77, v53
	v_fmac_f32_e32 v61, 0xbe3c28d5, v146
	v_add_f32_e32 v54, v55, v54
	v_fma_f32 v63, 0xbf7ba420, v145, -v69
	v_lshl_add_u32 v58, v58, 3, v117
	v_add_f32_e32 v158, v188, v158
	v_add_f32_e32 v192, v209, v195
	;; [unrolled: 1-line block ×8, first 2 shown]
	ds_write2_b64 v58, v[0:1], v[56:57] offset1:1
	ds_write2_b64 v58, v[158:159], v[163:164] offset0:2 offset1:3
	ds_write2_b64 v58, v[191:192], v[113:114] offset0:4 offset1:5
	;; [unrolled: 1-line block ×7, first 2 shown]
	ds_write_b64 v58, v[54:55] offset:128
.LBB0_17:
	s_or_b32 exec_lo, exec_lo, s1
	v_add_nc_u32_e32 v78, 0xc00, v118
	v_add_nc_u32_e32 v0, 0x1000, v118
	;; [unrolled: 1-line block ×3, first 2 shown]
	s_waitcnt lgkmcnt(0)
	s_barrier
	buffer_gl0_inv
	ds_read2_b64 v[52:55], v78 offset0:126 offset1:211
	ds_read2_b64 v[0:3], v0 offset0:168 offset1:253
	;; [unrolled: 1-line block ×3, first 2 shown]
	v_add_nc_u32_e32 v79, 0x1c00, v118
	v_add_nc_u32_e32 v72, 0x800, v118
	ds_read2_b64 v[60:63], v118 offset1:85
	ds_read2_b64 v[64:67], v118 offset0:170 offset1:255
	ds_read2_b64 v[68:71], v79 offset0:124 offset1:209
	;; [unrolled: 1-line block ×3, first 2 shown]
	s_waitcnt lgkmcnt(0)
	s_barrier
	buffer_gl0_inv
	v_mul_f32_e32 v95, v92, v3
	v_mul_f32_e32 v76, v84, v55
	;; [unrolled: 1-line block ×8, first 2 shown]
	v_fmac_f32_e32 v84, v93, v0
	v_fma_f32 v0, v93, v1, -v94
	v_fma_f32 v1, v91, v3, -v92
	v_mul_f32_e32 v3, v86, v58
	v_mul_f32_e32 v99, v86, v59
	v_fmac_f32_e32 v76, v83, v54
	v_fma_f32 v54, v83, v55, -v77
	v_fmac_f32_e32 v96, v89, v56
	v_mul_f32_e32 v55, v88, v69
	v_mul_f32_e32 v56, v88, v68
	;; [unrolled: 1-line block ×3, first 2 shown]
	v_fma_f32 v3, v85, v59, -v3
	v_mul_f32_e32 v59, v82, v70
	v_fmac_f32_e32 v95, v91, v2
	v_fma_f32 v2, v89, v57, -v90
	v_fmac_f32_e32 v99, v85, v58
	v_fmac_f32_e32 v55, v87, v68
	v_fma_f32 v85, v87, v69, -v56
	v_fmac_f32_e32 v83, v81, v70
	v_sub_f32_e32 v56, v60, v76
	v_sub_f32_e32 v57, v61, v54
	v_fma_f32 v81, v81, v71, -v59
	v_sub_f32_e32 v58, v62, v84
	v_sub_f32_e32 v59, v63, v0
	;; [unrolled: 1-line block ×8, first 2 shown]
	v_fma_f32 v60, v60, 2.0, -v56
	v_fma_f32 v61, v61, 2.0, -v57
	v_sub_f32_e32 v2, v74, v55
	v_sub_f32_e32 v3, v75, v85
	;; [unrolled: 1-line block ×4, first 2 shown]
	v_fma_f32 v62, v62, 2.0, -v58
	v_fma_f32 v63, v63, 2.0, -v59
	;; [unrolled: 1-line block ×12, first 2 shown]
	ds_write2_b64 v126, v[60:61], v[56:57] offset1:17
	ds_write2_b64 v128, v[62:63], v[58:59] offset1:17
	;; [unrolled: 1-line block ×7, first 2 shown]
	v_add_nc_u32_e32 v60, 0x400, v118
	v_add_nc_u32_e32 v76, 0x1400, v118
	s_waitcnt lgkmcnt(0)
	s_barrier
	buffer_gl0_inv
	ds_read2_b64 v[56:59], v118 offset1:85
	ds_read2_b64 v[72:75], v60 offset0:110 offset1:195
	ds_read2_b64 v[68:71], v78 offset0:92 offset1:177
	;; [unrolled: 1-line block ×4, first 2 shown]
	s_and_saveexec_b32 s1, s0
	s_cbranch_execz .LBB0_19
; %bb.18:
	v_add_nc_u32_e32 v0, 0x500, v118
	ds_read2_b64 v[52:55], v76 offset0:6 offset1:244
	ds_read2_b64 v[0:3], v0 offset0:10 offset1:248
	ds_read_b64 v[97:98], v118 offset:8976
.LBB0_19:
	s_or_b32 exec_lo, exec_lo, s1
	s_waitcnt lgkmcnt(3)
	v_mul_f32_e32 v76, v25, v73
	v_mul_f32_e32 v77, v25, v72
	s_waitcnt lgkmcnt(2)
	v_mul_f32_e32 v78, v27, v69
	v_mul_f32_e32 v27, v27, v68
	v_add_nc_u32_e32 v25, 0x2a8, v121
	v_fmac_f32_e32 v76, v24, v72
	s_waitcnt lgkmcnt(1)
	v_mul_f32_e32 v72, v21, v65
	v_mul_f32_e32 v21, v21, v64
	v_fma_f32 v24, v24, v73, -v77
	s_waitcnt lgkmcnt(0)
	v_mul_f32_e32 v73, v23, v61
	v_fmac_f32_e32 v78, v26, v68
	v_fma_f32 v26, v26, v69, -v27
	v_fmac_f32_e32 v72, v20, v64
	v_fma_f32 v27, v20, v65, -v21
	v_mul_f32_e32 v20, v23, v60
	v_mul_f32_e32 v64, v17, v75
	;; [unrolled: 1-line block ×5, first 2 shown]
	v_fmac_f32_e32 v73, v22, v60
	v_fma_f32 v60, v22, v61, -v20
	v_fma_f32 v61, v16, v75, -v17
	v_fmac_f32_e32 v65, v18, v70
	v_fma_f32 v68, v18, v71, -v19
	v_mul_f32_e32 v69, v13, v67
	v_mul_f32_e32 v17, v13, v66
	v_add_f32_e32 v18, v56, v76
	v_fmac_f32_e32 v64, v16, v74
	v_add_f32_e32 v16, v78, v72
	v_fmac_f32_e32 v69, v12, v66
	v_fma_f32 v12, v12, v67, -v17
	v_add_f32_e32 v17, v18, v78
	v_sub_f32_e32 v18, v76, v78
	v_sub_f32_e32 v20, v73, v72
	v_add_f32_e32 v22, v76, v73
	v_mul_f32_e32 v70, v15, v63
	v_fma_f32 v13, -0.5, v16, v56
	v_sub_f32_e32 v19, v24, v60
	v_sub_f32_e32 v21, v26, v27
	v_mul_f32_e32 v15, v15, v62
	v_add_f32_e32 v17, v17, v72
	v_add_f32_e32 v23, v18, v20
	v_fma_f32 v18, -0.5, v22, v56
	v_fmac_f32_e32 v70, v14, v62
	v_fmamk_f32 v16, v19, 0xbf737871, v13
	v_fma_f32 v15, v14, v63, -v15
	v_add_f32_e32 v20, v17, v73
	v_fmac_f32_e32 v13, 0x3f737871, v19
	v_fmamk_f32 v22, v21, 0x3f737871, v18
	v_sub_f32_e32 v14, v78, v76
	v_sub_f32_e32 v17, v72, v73
	v_add_f32_e32 v56, v57, v24
	v_add_f32_e32 v62, v26, v27
	v_fmac_f32_e32 v18, 0xbf737871, v21
	v_fmac_f32_e32 v16, 0xbf167918, v21
	;; [unrolled: 1-line block ×4, first 2 shown]
	v_add_f32_e32 v63, v14, v17
	v_add_f32_e32 v17, v56, v26
	v_fma_f32 v14, -0.5, v62, v57
	v_sub_f32_e32 v56, v76, v73
	v_fmac_f32_e32 v18, 0x3f167918, v19
	v_add_f32_e32 v19, v24, v60
	v_fmac_f32_e32 v16, 0x3e9e377a, v23
	v_fmac_f32_e32 v13, 0x3e9e377a, v23
	v_add_f32_e32 v21, v17, v27
	v_fmamk_f32 v17, v56, 0x3f737871, v14
	v_sub_f32_e32 v62, v78, v72
	v_sub_f32_e32 v23, v24, v26
	;; [unrolled: 1-line block ×3, first 2 shown]
	v_fma_f32 v19, -0.5, v19, v57
	v_fmac_f32_e32 v14, 0xbf737871, v56
	v_sub_f32_e32 v24, v26, v24
	v_sub_f32_e32 v26, v27, v60
	v_add_f32_e32 v27, v65, v69
	v_fmac_f32_e32 v22, 0x3e9e377a, v63
	v_fmac_f32_e32 v18, 0x3e9e377a, v63
	v_add_f32_e32 v21, v21, v60
	v_fmac_f32_e32 v17, 0x3f167918, v62
	v_add_f32_e32 v57, v23, v66
	v_fmamk_f32 v23, v62, 0xbf737871, v19
	v_fmac_f32_e32 v14, 0xbf167918, v62
	v_add_f32_e32 v24, v24, v26
	v_fmac_f32_e32 v19, 0x3f737871, v62
	v_add_f32_e32 v60, v58, v64
	v_fma_f32 v26, -0.5, v27, v58
	v_sub_f32_e32 v63, v61, v15
	v_fmac_f32_e32 v17, 0x3e9e377a, v57
	v_fmac_f32_e32 v23, 0x3f167918, v56
	v_fmac_f32_e32 v14, 0x3e9e377a, v57
	v_fmac_f32_e32 v19, 0xbf167918, v56
	v_add_f32_e32 v27, v60, v65
	v_fmamk_f32 v56, v63, 0xbf737871, v26
	v_sub_f32_e32 v57, v68, v12
	v_sub_f32_e32 v60, v64, v65
	;; [unrolled: 1-line block ×3, first 2 shown]
	v_fmac_f32_e32 v26, 0x3f737871, v63
	v_add_f32_e32 v66, v64, v70
	v_fmac_f32_e32 v23, 0x3e9e377a, v24
	v_add_f32_e32 v27, v27, v69
	v_fmac_f32_e32 v56, 0xbf167918, v57
	v_add_f32_e32 v62, v60, v62
	v_fmac_f32_e32 v26, 0x3f167918, v57
	v_fma_f32 v58, -0.5, v66, v58
	v_fmac_f32_e32 v19, 0x3e9e377a, v24
	v_add_f32_e32 v24, v68, v12
	v_sub_f32_e32 v66, v65, v64
	v_sub_f32_e32 v67, v69, v70
	v_add_f32_e32 v60, v27, v70
	v_fmac_f32_e32 v56, 0x3e9e377a, v62
	v_fmac_f32_e32 v26, 0x3e9e377a, v62
	v_fmamk_f32 v62, v57, 0x3f737871, v58
	v_fmac_f32_e32 v58, 0xbf737871, v57
	v_add_f32_e32 v57, v59, v61
	v_fma_f32 v27, -0.5, v24, v59
	v_sub_f32_e32 v24, v64, v70
	v_add_f32_e32 v64, v66, v67
	v_add_f32_e32 v66, v61, v15
	v_fmac_f32_e32 v62, 0xbf167918, v63
	v_fmac_f32_e32 v58, 0x3f167918, v63
	v_add_f32_e32 v63, v57, v68
	v_sub_f32_e32 v65, v65, v69
	v_fmac_f32_e32 v59, -0.5, v66
	v_fmamk_f32 v57, v24, 0x3f737871, v27
	v_sub_f32_e32 v66, v61, v68
	v_sub_f32_e32 v67, v15, v12
	v_fmac_f32_e32 v62, 0x3e9e377a, v64
	v_fmac_f32_e32 v58, 0x3e9e377a, v64
	v_add_f32_e32 v64, v63, v12
	v_fmamk_f32 v63, v65, 0xbf737871, v59
	v_sub_f32_e32 v61, v68, v61
	v_sub_f32_e32 v12, v12, v15
	v_fmac_f32_e32 v59, 0x3f737871, v65
	v_fmac_f32_e32 v27, 0xbf737871, v24
	;; [unrolled: 1-line block ×3, first 2 shown]
	v_add_f32_e32 v66, v66, v67
	v_fmac_f32_e32 v63, 0x3f167918, v24
	v_add_f32_e32 v12, v61, v12
	v_fmac_f32_e32 v59, 0xbf167918, v24
	v_fmac_f32_e32 v27, 0xbf167918, v65
	v_add_f32_e32 v61, v64, v15
	v_fmac_f32_e32 v57, 0x3e9e377a, v66
	v_fmac_f32_e32 v63, 0x3e9e377a, v12
	;; [unrolled: 1-line block ×4, first 2 shown]
	s_barrier
	buffer_gl0_inv
	ds_write2_b64 v130, v[20:21], v[16:17] offset1:34
	ds_write2_b64 v130, v[22:23], v[18:19] offset0:68 offset1:102
	ds_write_b64 v130, v[13:14] offset:1088
	ds_write2_b64 v129, v[60:61], v[56:57] offset1:34
	ds_write2_b64 v129, v[62:63], v[58:59] offset0:68 offset1:102
	ds_write_b64 v129, v[26:27] offset:1088
	s_and_saveexec_b32 s1, s0
	s_cbranch_execz .LBB0_21
; %bb.20:
	v_mul_f32_e32 v12, v11, v52
	v_mul_f32_e32 v13, v9, v2
	;; [unrolled: 1-line block ×5, first 2 shown]
	v_fma_f32 v12, v10, v53, -v12
	v_fma_f32 v13, v8, v3, -v13
	;; [unrolled: 1-line block ×3, first 2 shown]
	v_mul_f32_e32 v17, v9, v3
	v_mul_f32_e32 v18, v7, v98
	v_fmac_f32_e32 v11, v10, v52
	v_fma_f32 v10, v4, v55, -v15
	v_mul_f32_e32 v16, v5, v55
	v_add_f32_e32 v3, v14, v13
	v_fmac_f32_e32 v17, v8, v2
	v_fmac_f32_e32 v18, v6, v97
	v_add_f32_e32 v7, v10, v12
	v_fmac_f32_e32 v16, v4, v54
	v_fma_f32 v3, -0.5, v3, v1
	v_sub_f32_e32 v2, v12, v13
	v_sub_f32_e32 v4, v10, v14
	v_add_f32_e32 v6, v18, v17
	v_fma_f32 v7, -0.5, v7, v1
	v_add_f32_e32 v1, v13, v1
	v_sub_f32_e32 v8, v16, v18
	v_add_f32_e32 v20, v4, v2
	v_fma_f32 v2, -0.5, v6, v0
	v_sub_f32_e32 v6, v11, v17
	v_add_f32_e32 v24, v16, v11
	v_add_f32_e32 v1, v12, v1
	v_sub_f32_e32 v19, v17, v18
	v_sub_f32_e32 v21, v12, v10
	;; [unrolled: 1-line block ×5, first 2 shown]
	v_add_f32_e32 v26, v8, v6
	v_fma_f32 v6, -0.5, v24, v0
	v_add_f32_e32 v0, v0, v17
	v_add_f32_e32 v1, v10, v1
	v_mov_b32_e32 v10, 0xaa
	v_sub_f32_e32 v15, v11, v16
	v_add_f32_e32 v23, v23, v9
	v_fmamk_f32 v9, v19, 0x3f737871, v7
	v_sub_f32_e32 v24, v17, v11
	v_sub_f32_e32 v13, v18, v16
	v_fmamk_f32 v8, v22, 0xbf737871, v6
	v_add_f32_e32 v0, v11, v0
	v_mul_u32_u24_sdwa v10, v119, v10 dst_sel:DWORD dst_unused:UNUSED_PAD src0_sel:WORD_0 src1_sel:DWORD
	v_fmamk_f32 v5, v15, 0xbf737871, v3
	v_fmamk_f32 v4, v21, 0x3f737871, v2
	v_fmac_f32_e32 v3, 0x3f737871, v15
	v_fmac_f32_e32 v2, 0xbf737871, v21
	;; [unrolled: 1-line block ×5, first 2 shown]
	v_add_f32_e32 v11, v13, v24
	v_fmac_f32_e32 v8, 0xbf167918, v21
	v_add_f32_e32 v0, v16, v0
	v_add_nc_u32_sdwa v10, v10, v120 dst_sel:DWORD dst_unused:UNUSED_PAD src0_sel:DWORD src1_sel:BYTE_0
	v_fmac_f32_e32 v5, 0x3f167918, v19
	v_fmac_f32_e32 v4, 0xbf167918, v22
	;; [unrolled: 1-line block ×8, first 2 shown]
	v_add_f32_e32 v1, v14, v1
	v_add_f32_e32 v0, v18, v0
	v_lshl_add_u32 v10, v10, 3, v117
	v_fmac_f32_e32 v5, 0x3e9e377a, v20
	v_fmac_f32_e32 v4, 0x3e9e377a, v26
	;; [unrolled: 1-line block ×6, first 2 shown]
	ds_write2_b64 v10, v[0:1], v[8:9] offset1:34
	ds_write2_b64 v10, v[4:5], v[2:3] offset0:68 offset1:102
	ds_write_b64 v10, v[6:7] offset:1088
.LBB0_21:
	s_or_b32 exec_lo, exec_lo, s1
	s_waitcnt lgkmcnt(0)
	s_barrier
	buffer_gl0_inv
	ds_read2_b64 v[0:3], v118 offset0:170 offset1:255
	v_add_nc_u32_e32 v4, 0x800, v118
	v_add_nc_u32_e32 v8, 0xc00, v118
	;; [unrolled: 1-line block ×5, first 2 shown]
	ds_read2_b64 v[4:7], v4 offset0:84 offset1:169
	ds_read2_b64 v[8:11], v8 offset0:126 offset1:211
	;; [unrolled: 1-line block ×5, first 2 shown]
	ds_read2_b64 v[52:55], v118 offset1:85
	s_waitcnt lgkmcnt(6)
	v_mul_f32_e32 v24, v45, v1
	v_mul_f32_e32 v26, v45, v0
	v_fmac_f32_e32 v24, v44, v0
	v_fma_f32 v0, v44, v1, -v26
	s_waitcnt lgkmcnt(5)
	v_mul_f32_e32 v1, v47, v5
	v_mul_f32_e32 v26, v47, v4
	s_waitcnt lgkmcnt(4)
	v_mul_f32_e32 v27, v41, v9
	v_mul_f32_e32 v41, v41, v8
	;; [unrolled: 3-line block ×3, first 2 shown]
	v_mul_f32_e32 v43, v43, v12
	v_fmac_f32_e32 v1, v46, v4
	v_fma_f32 v4, v46, v5, -v26
	v_fma_f32 v5, v40, v9, -v41
	v_fmac_f32_e32 v45, v28, v16
	v_mul_f32_e32 v9, v29, v16
	v_mul_f32_e32 v16, v49, v3
	;; [unrolled: 1-line block ×3, first 2 shown]
	v_fmac_f32_e32 v27, v40, v8
	v_fmac_f32_e32 v44, v42, v12
	v_fma_f32 v8, v42, v13, -v43
	s_waitcnt lgkmcnt(1)
	v_mul_f32_e32 v12, v31, v21
	v_mul_f32_e32 v13, v31, v20
	v_fma_f32 v9, v28, v17, -v9
	v_fmac_f32_e32 v16, v48, v2
	v_fma_f32 v17, v48, v3, -v26
	v_mul_f32_e32 v2, v51, v6
	v_mul_f32_e32 v3, v37, v10
	v_fmac_f32_e32 v12, v30, v20
	v_fma_f32 v13, v30, v21, -v13
	v_mul_f32_e32 v20, v51, v7
	v_mul_f32_e32 v21, v37, v11
	v_fma_f32 v28, v50, v7, -v2
	v_fma_f32 v29, v36, v11, -v3
	v_mul_f32_e32 v2, v39, v14
	v_mul_f32_e32 v30, v33, v19
	;; [unrolled: 1-line block ×4, first 2 shown]
	v_fmac_f32_e32 v20, v50, v6
	v_fmac_f32_e32 v21, v36, v10
	v_mul_f32_e32 v6, v35, v22
	v_fma_f32 v15, v38, v15, -v2
	v_fmac_f32_e32 v30, v32, v18
	v_fma_f32 v18, v32, v19, -v3
	v_add_f32_e32 v2, v24, v12
	v_add_f32_e32 v3, v0, v13
	;; [unrolled: 1-line block ×4, first 2 shown]
	v_mul_f32_e32 v31, v35, v23
	v_fma_f32 v19, v34, v23, -v6
	v_sub_f32_e32 v6, v24, v12
	v_sub_f32_e32 v0, v0, v13
	;; [unrolled: 1-line block ×4, first 2 shown]
	v_add_f32_e32 v9, v27, v44
	v_add_f32_e32 v11, v5, v8
	v_sub_f32_e32 v12, v44, v27
	v_sub_f32_e32 v5, v8, v5
	v_add_f32_e32 v8, v7, v2
	v_add_f32_e32 v13, v10, v3
	v_fmac_f32_e32 v26, v38, v14
	v_fmac_f32_e32 v31, v34, v22
	v_sub_f32_e32 v14, v7, v2
	v_sub_f32_e32 v22, v10, v3
	;; [unrolled: 1-line block ×6, first 2 shown]
	v_add_f32_e32 v2, v12, v1
	v_add_f32_e32 v24, v5, v4
	v_sub_f32_e32 v27, v12, v1
	v_sub_f32_e32 v32, v5, v4
	v_add_f32_e32 v8, v9, v8
	v_add_f32_e32 v9, v11, v13
	v_sub_f32_e32 v33, v1, v6
	v_sub_f32_e32 v12, v6, v12
	v_sub_f32_e32 v5, v0, v5
	v_sub_f32_e32 v4, v4, v0
	v_add_f32_e32 v6, v2, v6
	v_add_f32_e32 v0, v24, v0
	s_waitcnt lgkmcnt(0)
	v_add_f32_e32 v1, v52, v8
	v_add_f32_e32 v2, v53, v9
	v_mul_f32_e32 v11, 0x3f4a47b2, v23
	v_mul_f32_e32 v3, 0x3f4a47b2, v3
	;; [unrolled: 1-line block ×8, first 2 shown]
	v_fmamk_f32 v8, v8, 0xbf955555, v1
	v_fmamk_f32 v9, v9, 0xbf955555, v2
	v_fmamk_f32 v7, v7, 0x3d64c772, v11
	v_fmamk_f32 v10, v10, 0x3d64c772, v3
	v_fma_f32 v13, 0x3f3bfb3b, v14, -v13
	v_fma_f32 v23, 0x3f3bfb3b, v22, -v23
	;; [unrolled: 1-line block ×4, first 2 shown]
	v_fmamk_f32 v14, v12, 0xbeae86e6, v24
	v_fmamk_f32 v22, v5, 0xbeae86e6, v27
	v_fma_f32 v24, 0xbf5ff5aa, v33, -v24
	v_fma_f32 v27, 0xbf5ff5aa, v4, -v27
	;; [unrolled: 1-line block ×4, first 2 shown]
	v_add_f32_e32 v33, v7, v8
	v_add_f32_e32 v34, v10, v9
	;; [unrolled: 1-line block ×4, first 2 shown]
	v_fmac_f32_e32 v22, 0xbee1c552, v0
	v_fmac_f32_e32 v24, 0xbee1c552, v6
	;; [unrolled: 1-line block ×3, first 2 shown]
	v_add_f32_e32 v23, v3, v9
	v_fmac_f32_e32 v12, 0xbee1c552, v6
	v_add_f32_e32 v11, v11, v8
	v_fmac_f32_e32 v32, 0xbee1c552, v0
	v_add_f32_e32 v3, v22, v33
	v_sub_f32_e32 v7, v10, v27
	v_add_f32_e32 v8, v24, v13
	v_add_f32_e32 v9, v27, v10
	v_sub_f32_e32 v10, v13, v24
	v_sub_f32_e32 v13, v33, v22
	v_add_f32_e32 v0, v16, v31
	v_add_f32_e32 v22, v17, v19
	v_sub_f32_e32 v17, v17, v19
	v_add_f32_e32 v19, v20, v30
	v_fmac_f32_e32 v14, 0xbee1c552, v6
	v_sub_f32_e32 v6, v23, v12
	v_add_f32_e32 v12, v12, v23
	v_add_f32_e32 v23, v28, v18
	v_sub_f32_e32 v20, v20, v30
	v_sub_f32_e32 v18, v28, v18
	v_add_f32_e32 v24, v21, v26
	v_add_f32_e32 v27, v29, v15
	v_sub_f32_e32 v21, v26, v21
	v_sub_f32_e32 v15, v15, v29
	v_add_f32_e32 v26, v19, v0
	v_sub_f32_e32 v16, v16, v31
	v_add_f32_e32 v28, v23, v22
	;; [unrolled: 2-line block ×4, first 2 shown]
	v_sub_f32_e32 v29, v19, v0
	v_sub_f32_e32 v30, v23, v22
	;; [unrolled: 1-line block ×6, first 2 shown]
	v_add_f32_e32 v31, v21, v20
	v_add_f32_e32 v32, v15, v18
	v_sub_f32_e32 v33, v21, v20
	v_sub_f32_e32 v34, v15, v18
	v_add_f32_e32 v24, v24, v26
	v_sub_f32_e32 v18, v18, v17
	v_sub_f32_e32 v20, v20, v16
	v_add_f32_e32 v26, v27, v28
	v_sub_f32_e32 v35, v17, v15
	v_add_f32_e32 v27, v31, v16
	v_add_f32_e32 v17, v32, v17
	;; [unrolled: 1-line block ×3, first 2 shown]
	v_mul_f32_e32 v0, 0x3f4a47b2, v0
	v_mul_f32_e32 v22, 0x3f4a47b2, v22
	;; [unrolled: 1-line block ×6, first 2 shown]
	v_sub_f32_e32 v21, v16, v21
	v_add_f32_e32 v16, v55, v26
	v_mul_f32_e32 v28, 0x3d64c772, v19
	v_mul_f32_e32 v34, 0xbf5ff5aa, v20
	v_fmamk_f32 v24, v24, 0xbf955555, v15
	v_fmamk_f32 v19, v19, 0x3d64c772, v0
	;; [unrolled: 1-line block ×3, first 2 shown]
	v_fma_f32 v31, 0x3f3bfb3b, v30, -v31
	v_fma_f32 v0, 0xbf3bfb3b, v29, -v0
	v_fma_f32 v22, 0xbf3bfb3b, v30, -v22
	v_fmamk_f32 v30, v35, 0xbeae86e6, v33
	v_fma_f32 v35, 0x3eae86e6, v35, -v36
	v_fmamk_f32 v26, v26, 0xbf955555, v16
	v_fma_f32 v28, 0x3f3bfb3b, v29, -v28
	v_fma_f32 v34, 0x3eae86e6, v21, -v34
	v_fmamk_f32 v29, v21, 0xbeae86e6, v32
	v_fma_f32 v32, 0xbf5ff5aa, v20, -v32
	v_fma_f32 v33, 0xbf5ff5aa, v18, -v33
	v_add_f32_e32 v0, v0, v24
	v_fmac_f32_e32 v35, 0xbee1c552, v17
	v_add_f32_e32 v37, v23, v26
	v_add_f32_e32 v23, v28, v24
	v_add_f32_e32 v28, v31, v26
	v_add_f32_e32 v31, v22, v26
	v_fmac_f32_e32 v34, 0xbee1c552, v27
	v_add_f32_e32 v36, v19, v24
	v_fmac_f32_e32 v29, 0xbee1c552, v27
	v_fmac_f32_e32 v30, 0xbee1c552, v17
	;; [unrolled: 1-line block ×4, first 2 shown]
	v_add_f32_e32 v19, v35, v0
	v_sub_f32_e32 v26, v0, v35
	v_add_nc_u32_e32 v0, 0x800, v121
	v_sub_f32_e32 v20, v31, v34
	v_add_f32_e32 v27, v34, v31
	v_add_nc_u32_e32 v31, 0x1400, v121
	v_add_f32_e32 v17, v30, v36
	v_sub_f32_e32 v18, v37, v29
	ds_write_b64 v121, v[1:2]
	ds_write2_b64 v0, v[5:6], v[7:8] offset0:84 offset1:254
	ds_write2_b64 v31, v[9:10], v[11:12] offset0:40 offset1:210
	v_add_nc_u32_e32 v1, 0x400, v25
	v_sub_f32_e32 v21, v23, v33
	v_add_f32_e32 v22, v32, v28
	v_add_f32_e32 v23, v33, v23
	v_sub_f32_e32 v24, v28, v32
	v_add_nc_u32_e32 v2, 0xe00, v25
	v_sub_f32_e32 v28, v36, v30
	v_add_f32_e32 v29, v29, v37
	v_add_nc_u32_e32 v5, 0x1800, v25
	ds_write_b64 v121, v[13:14] offset:8160
	ds_write2_b64 v121, v[15:16], v[3:4] offset0:85 offset1:170
	ds_write2_b64 v1, v[17:18], v[19:20] offset0:42 offset1:212
	ds_write2_b64 v2, v[21:22], v[23:24] offset0:62 offset1:232
	ds_write2_b64 v5, v[26:27], v[28:29] offset0:82 offset1:252
	s_waitcnt lgkmcnt(0)
	s_barrier
	buffer_gl0_inv
	s_and_b32 exec_lo, exec_lo, vcc_lo
	s_cbranch_execz .LBB0_23
; %bb.22:
	global_load_dwordx2 v[1:2], v115, s[12:13]
	ds_read_b64 v[3:4], v121
	s_mov_b32 s0, 0x1b89401c
	s_mov_b32 s1, 0x3f4b8940
	v_mad_u64_u32 v[7:8], null, s4, v116, 0
	s_mul_i32 s2, s5, 0x230
	s_mul_i32 s3, s4, 0x230
	s_waitcnt vmcnt(0) lgkmcnt(0)
	v_mul_f32_e32 v5, v4, v2
	v_mul_f32_e32 v2, v3, v2
	v_fmac_f32_e32 v5, v3, v1
	v_fma_f32 v3, v1, v4, -v2
	v_cvt_f64_f32_e32 v[1:2], v5
	v_cvt_f64_f32_e32 v[3:4], v3
	v_mad_u64_u32 v[5:6], null, s6, v80, 0
	v_mad_u64_u32 v[9:10], null, s7, v80, v[6:7]
	;; [unrolled: 1-line block ×3, first 2 shown]
	v_mov_b32_e32 v6, v9
	s_mul_hi_u32 s5, s4, 0x230
	v_mul_f64 v[1:2], v[1:2], s[0:1]
	v_mul_f64 v[3:4], v[3:4], s[0:1]
	s_add_i32 s2, s5, s2
	v_add_co_u32 v11, s4, s12, v115
	v_mov_b32_e32 v8, v10
	v_add_co_ci_u32_e64 v12, null, s13, 0, s4
	v_cvt_f32_f64_e32 v1, v[1:2]
	v_cvt_f32_f64_e32 v2, v[3:4]
	v_lshlrev_b64 v[3:4], 3, v[5:6]
	v_lshlrev_b64 v[5:6], 3, v[7:8]
	v_add_co_u32 v3, vcc_lo, s14, v3
	v_add_co_ci_u32_e32 v4, vcc_lo, s15, v4, vcc_lo
	v_add_co_u32 v5, vcc_lo, v3, v5
	v_add_co_ci_u32_e32 v6, vcc_lo, v4, v6, vcc_lo
	global_store_dwordx2 v[5:6], v[1:2], off
	global_load_dwordx2 v[7:8], v115, s[12:13] offset:560
	ds_read2_b64 v[1:4], v121 offset0:70 offset1:140
	v_add_co_u32 v5, vcc_lo, v5, s3
	v_add_co_ci_u32_e32 v6, vcc_lo, s2, v6, vcc_lo
	s_waitcnt vmcnt(0) lgkmcnt(0)
	v_mul_f32_e32 v9, v2, v8
	v_mul_f32_e32 v8, v1, v8
	v_fmac_f32_e32 v9, v1, v7
	v_fma_f32 v7, v7, v2, -v8
	v_cvt_f64_f32_e32 v[1:2], v9
	v_cvt_f64_f32_e32 v[7:8], v7
	v_mul_f64 v[1:2], v[1:2], s[0:1]
	v_mul_f64 v[7:8], v[7:8], s[0:1]
	v_cvt_f32_f64_e32 v1, v[1:2]
	v_cvt_f32_f64_e32 v2, v[7:8]
	global_store_dwordx2 v[5:6], v[1:2], off
	global_load_dwordx2 v[1:2], v115, s[12:13] offset:1120
	v_add_co_u32 v5, vcc_lo, v5, s3
	v_add_co_ci_u32_e32 v6, vcc_lo, s2, v6, vcc_lo
	s_waitcnt vmcnt(0)
	v_mul_f32_e32 v7, v4, v2
	v_mul_f32_e32 v2, v3, v2
	v_fmac_f32_e32 v7, v3, v1
	v_fma_f32 v3, v1, v4, -v2
	v_cvt_f64_f32_e32 v[1:2], v7
	v_cvt_f64_f32_e32 v[3:4], v3
	v_mul_f64 v[1:2], v[1:2], s[0:1]
	v_mul_f64 v[3:4], v[3:4], s[0:1]
	v_cvt_f32_f64_e32 v1, v[1:2]
	v_cvt_f32_f64_e32 v2, v[3:4]
	global_store_dwordx2 v[5:6], v[1:2], off
	global_load_dwordx2 v[7:8], v115, s[12:13] offset:1680
	v_add_nc_u32_e32 v1, 0x400, v121
	v_add_co_u32 v5, vcc_lo, v5, s3
	v_add_co_ci_u32_e32 v6, vcc_lo, s2, v6, vcc_lo
	ds_read2_b64 v[1:4], v1 offset0:82 offset1:152
	s_waitcnt vmcnt(0) lgkmcnt(0)
	v_mul_f32_e32 v9, v2, v8
	v_mul_f32_e32 v8, v1, v8
	v_fmac_f32_e32 v9, v1, v7
	v_fma_f32 v7, v7, v2, -v8
	v_cvt_f64_f32_e32 v[1:2], v9
	v_cvt_f64_f32_e32 v[7:8], v7
	v_mul_f64 v[1:2], v[1:2], s[0:1]
	v_mul_f64 v[7:8], v[7:8], s[0:1]
	v_cvt_f32_f64_e32 v1, v[1:2]
	v_cvt_f32_f64_e32 v2, v[7:8]
	v_add_co_u32 v7, vcc_lo, 0x800, v11
	v_add_co_ci_u32_e32 v8, vcc_lo, 0, v12, vcc_lo
	global_store_dwordx2 v[5:6], v[1:2], off
	global_load_dwordx2 v[1:2], v[7:8], off offset:192
	s_waitcnt vmcnt(0)
	v_mul_f32_e32 v9, v4, v2
	v_mul_f32_e32 v2, v3, v2
	v_fmac_f32_e32 v9, v3, v1
	v_fma_f32 v3, v1, v4, -v2
	v_cvt_f64_f32_e32 v[1:2], v9
	v_cvt_f64_f32_e32 v[3:4], v3
	v_mul_f64 v[1:2], v[1:2], s[0:1]
	v_mul_f64 v[3:4], v[3:4], s[0:1]
	v_cvt_f32_f64_e32 v1, v[1:2]
	v_cvt_f32_f64_e32 v2, v[3:4]
	v_add_co_u32 v4, vcc_lo, v5, s3
	v_add_co_ci_u32_e32 v5, vcc_lo, s2, v6, vcc_lo
	global_store_dwordx2 v[4:5], v[1:2], off
	global_load_dwordx2 v[9:10], v[7:8], off offset:752
	ds_read2_b64 v[0:3], v0 offset0:94 offset1:164
	v_add_co_u32 v4, vcc_lo, v4, s3
	v_add_co_ci_u32_e32 v5, vcc_lo, s2, v5, vcc_lo
	s_waitcnt vmcnt(0) lgkmcnt(0)
	v_mul_f32_e32 v6, v1, v10
	v_mul_f32_e32 v10, v0, v10
	v_fmac_f32_e32 v6, v0, v9
	v_fma_f32 v9, v9, v1, -v10
	v_cvt_f64_f32_e32 v[0:1], v6
	v_cvt_f64_f32_e32 v[9:10], v9
	v_mul_f64 v[0:1], v[0:1], s[0:1]
	v_mul_f64 v[9:10], v[9:10], s[0:1]
	v_cvt_f32_f64_e32 v0, v[0:1]
	v_cvt_f32_f64_e32 v1, v[9:10]
	global_store_dwordx2 v[4:5], v[0:1], off
	global_load_dwordx2 v[0:1], v[7:8], off offset:1312
	v_add_co_u32 v4, vcc_lo, v4, s3
	v_add_co_ci_u32_e32 v5, vcc_lo, s2, v5, vcc_lo
	s_waitcnt vmcnt(0)
	v_mul_f32_e32 v6, v3, v1
	v_mul_f32_e32 v1, v2, v1
	v_fmac_f32_e32 v6, v2, v0
	v_fma_f32 v2, v0, v3, -v1
	v_cvt_f64_f32_e32 v[0:1], v6
	v_cvt_f64_f32_e32 v[2:3], v2
	v_mul_f64 v[0:1], v[0:1], s[0:1]
	v_mul_f64 v[2:3], v[2:3], s[0:1]
	v_cvt_f32_f64_e32 v0, v[0:1]
	v_cvt_f32_f64_e32 v1, v[2:3]
	global_store_dwordx2 v[4:5], v[0:1], off
	global_load_dwordx2 v[6:7], v[7:8], off offset:1872
	v_add_nc_u32_e32 v0, 0xc00, v121
	v_add_co_u32 v4, vcc_lo, v4, s3
	v_add_co_ci_u32_e32 v5, vcc_lo, s2, v5, vcc_lo
	ds_read2_b64 v[0:3], v0 offset0:106 offset1:176
	s_waitcnt vmcnt(0) lgkmcnt(0)
	v_mul_f32_e32 v8, v1, v7
	v_mul_f32_e32 v7, v0, v7
	v_fmac_f32_e32 v8, v0, v6
	v_fma_f32 v6, v6, v1, -v7
	v_cvt_f64_f32_e32 v[0:1], v8
	v_cvt_f64_f32_e32 v[6:7], v6
	v_mul_f64 v[0:1], v[0:1], s[0:1]
	v_mul_f64 v[6:7], v[6:7], s[0:1]
	v_cvt_f32_f64_e32 v0, v[0:1]
	v_cvt_f32_f64_e32 v1, v[6:7]
	v_add_co_u32 v6, vcc_lo, 0x1000, v11
	v_add_co_ci_u32_e32 v7, vcc_lo, 0, v12, vcc_lo
	global_store_dwordx2 v[4:5], v[0:1], off
	global_load_dwordx2 v[0:1], v[6:7], off offset:384
	v_add_co_u32 v4, vcc_lo, v4, s3
	v_add_co_ci_u32_e32 v5, vcc_lo, s2, v5, vcc_lo
	s_waitcnt vmcnt(0)
	v_mul_f32_e32 v8, v3, v1
	v_mul_f32_e32 v1, v2, v1
	v_fmac_f32_e32 v8, v2, v0
	v_fma_f32 v2, v0, v3, -v1
	v_cvt_f64_f32_e32 v[0:1], v8
	v_cvt_f64_f32_e32 v[2:3], v2
	v_mul_f64 v[0:1], v[0:1], s[0:1]
	v_mul_f64 v[2:3], v[2:3], s[0:1]
	v_cvt_f32_f64_e32 v0, v[0:1]
	v_cvt_f32_f64_e32 v1, v[2:3]
	global_store_dwordx2 v[4:5], v[0:1], off
	global_load_dwordx2 v[8:9], v[6:7], off offset:944
	v_add_nc_u32_e32 v0, 0x1000, v121
	v_add_co_u32 v4, vcc_lo, v4, s3
	v_add_co_ci_u32_e32 v5, vcc_lo, s2, v5, vcc_lo
	ds_read2_b64 v[0:3], v0 offset0:118 offset1:188
	s_waitcnt vmcnt(0) lgkmcnt(0)
	v_mul_f32_e32 v10, v1, v9
	v_mul_f32_e32 v9, v0, v9
	v_fmac_f32_e32 v10, v0, v8
	v_fma_f32 v8, v8, v1, -v9
	v_cvt_f64_f32_e32 v[0:1], v10
	v_cvt_f64_f32_e32 v[8:9], v8
	v_add_nc_u32_e32 v10, 0x1800, v121
	v_mul_f64 v[0:1], v[0:1], s[0:1]
	v_mul_f64 v[8:9], v[8:9], s[0:1]
	v_cvt_f32_f64_e32 v0, v[0:1]
	v_cvt_f32_f64_e32 v1, v[8:9]
	global_store_dwordx2 v[4:5], v[0:1], off
	global_load_dwordx2 v[0:1], v[6:7], off offset:1504
	v_add_co_u32 v4, vcc_lo, v4, s3
	v_add_co_ci_u32_e32 v5, vcc_lo, s2, v5, vcc_lo
	s_waitcnt vmcnt(0)
	v_mul_f32_e32 v6, v3, v1
	v_mul_f32_e32 v1, v2, v1
	v_fmac_f32_e32 v6, v2, v0
	v_fma_f32 v2, v0, v3, -v1
	v_cvt_f64_f32_e32 v[0:1], v6
	v_cvt_f64_f32_e32 v[2:3], v2
	v_add_co_u32 v6, vcc_lo, 0x1800, v11
	v_add_co_ci_u32_e32 v7, vcc_lo, 0, v12, vcc_lo
	v_mul_f64 v[0:1], v[0:1], s[0:1]
	v_mul_f64 v[2:3], v[2:3], s[0:1]
	v_cvt_f32_f64_e32 v0, v[0:1]
	v_cvt_f32_f64_e32 v1, v[2:3]
	global_store_dwordx2 v[4:5], v[0:1], off
	global_load_dwordx2 v[8:9], v[6:7], off offset:16
	ds_read2_b64 v[0:3], v10 offset0:2 offset1:72
	v_add_co_u32 v4, vcc_lo, v4, s3
	v_add_co_ci_u32_e32 v5, vcc_lo, s2, v5, vcc_lo
	s_waitcnt vmcnt(0) lgkmcnt(0)
	v_mul_f32_e32 v13, v1, v9
	v_mul_f32_e32 v9, v0, v9
	v_fmac_f32_e32 v13, v0, v8
	v_fma_f32 v8, v8, v1, -v9
	v_cvt_f64_f32_e32 v[0:1], v13
	v_cvt_f64_f32_e32 v[8:9], v8
	v_mul_f64 v[0:1], v[0:1], s[0:1]
	v_mul_f64 v[8:9], v[8:9], s[0:1]
	v_cvt_f32_f64_e32 v0, v[0:1]
	v_cvt_f32_f64_e32 v1, v[8:9]
	global_store_dwordx2 v[4:5], v[0:1], off
	global_load_dwordx2 v[0:1], v[6:7], off offset:576
	v_add_co_u32 v4, vcc_lo, v4, s3
	v_add_co_ci_u32_e32 v5, vcc_lo, s2, v5, vcc_lo
	s_waitcnt vmcnt(0)
	v_mul_f32_e32 v8, v3, v1
	v_mul_f32_e32 v1, v2, v1
	v_fmac_f32_e32 v8, v2, v0
	v_fma_f32 v2, v0, v3, -v1
	v_cvt_f64_f32_e32 v[0:1], v8
	v_cvt_f64_f32_e32 v[2:3], v2
	v_mul_f64 v[0:1], v[0:1], s[0:1]
	v_mul_f64 v[2:3], v[2:3], s[0:1]
	v_cvt_f32_f64_e32 v0, v[0:1]
	v_cvt_f32_f64_e32 v1, v[2:3]
	global_store_dwordx2 v[4:5], v[0:1], off
	global_load_dwordx2 v[8:9], v[6:7], off offset:1136
	ds_read2_b64 v[0:3], v10 offset0:142 offset1:212
	v_add_co_u32 v4, vcc_lo, v4, s3
	v_add_co_ci_u32_e32 v5, vcc_lo, s2, v5, vcc_lo
	s_waitcnt vmcnt(0) lgkmcnt(0)
	v_mul_f32_e32 v10, v1, v9
	v_mul_f32_e32 v9, v0, v9
	v_fmac_f32_e32 v10, v0, v8
	v_fma_f32 v8, v8, v1, -v9
	v_cvt_f64_f32_e32 v[0:1], v10
	v_cvt_f64_f32_e32 v[8:9], v8
	v_mul_f64 v[0:1], v[0:1], s[0:1]
	v_mul_f64 v[8:9], v[8:9], s[0:1]
	v_cvt_f32_f64_e32 v0, v[0:1]
	v_cvt_f32_f64_e32 v1, v[8:9]
	global_store_dwordx2 v[4:5], v[0:1], off
	global_load_dwordx2 v[0:1], v[6:7], off offset:1696
	v_add_co_u32 v4, vcc_lo, v4, s3
	v_add_co_ci_u32_e32 v5, vcc_lo, s2, v5, vcc_lo
	s_waitcnt vmcnt(0)
	v_mul_f32_e32 v6, v3, v1
	v_mul_f32_e32 v1, v2, v1
	v_fmac_f32_e32 v6, v2, v0
	v_fma_f32 v2, v0, v3, -v1
	v_cvt_f64_f32_e32 v[0:1], v6
	v_cvt_f64_f32_e32 v[2:3], v2
	v_add_co_u32 v6, vcc_lo, 0x2000, v11
	v_add_co_ci_u32_e32 v7, vcc_lo, 0, v12, vcc_lo
	v_mul_f64 v[0:1], v[0:1], s[0:1]
	v_mul_f64 v[2:3], v[2:3], s[0:1]
	v_cvt_f32_f64_e32 v0, v[0:1]
	v_cvt_f32_f64_e32 v1, v[2:3]
	global_store_dwordx2 v[4:5], v[0:1], off
	global_load_dwordx2 v[8:9], v[6:7], off offset:208
	v_add_nc_u32_e32 v0, 0x2000, v121
	v_add_co_u32 v4, vcc_lo, v4, s3
	v_add_co_ci_u32_e32 v5, vcc_lo, s2, v5, vcc_lo
	ds_read2_b64 v[0:3], v0 offset0:26 offset1:96
	s_waitcnt vmcnt(0) lgkmcnt(0)
	v_mul_f32_e32 v10, v1, v9
	v_mul_f32_e32 v9, v0, v9
	v_fmac_f32_e32 v10, v0, v8
	v_fma_f32 v8, v8, v1, -v9
	v_cvt_f64_f32_e32 v[0:1], v10
	v_cvt_f64_f32_e32 v[8:9], v8
	v_mul_f64 v[0:1], v[0:1], s[0:1]
	v_mul_f64 v[8:9], v[8:9], s[0:1]
	v_cvt_f32_f64_e32 v0, v[0:1]
	v_cvt_f32_f64_e32 v1, v[8:9]
	global_store_dwordx2 v[4:5], v[0:1], off
	global_load_dwordx2 v[0:1], v[6:7], off offset:768
	s_waitcnt vmcnt(0)
	v_mul_f32_e32 v6, v3, v1
	v_mul_f32_e32 v1, v2, v1
	v_fmac_f32_e32 v6, v2, v0
	v_fma_f32 v2, v0, v3, -v1
	v_cvt_f64_f32_e32 v[0:1], v6
	v_cvt_f64_f32_e32 v[2:3], v2
	v_mul_f64 v[0:1], v[0:1], s[0:1]
	v_mul_f64 v[2:3], v[2:3], s[0:1]
	v_cvt_f32_f64_e32 v0, v[0:1]
	v_cvt_f32_f64_e32 v1, v[2:3]
	v_add_co_u32 v2, vcc_lo, v4, s3
	v_add_co_ci_u32_e32 v3, vcc_lo, s2, v5, vcc_lo
	global_store_dwordx2 v[2:3], v[0:1], off
.LBB0_23:
	s_endpgm
	.section	.rodata,"a",@progbits
	.p2align	6, 0x0
	.amdhsa_kernel bluestein_single_fwd_len1190_dim1_sp_op_CI_CI
		.amdhsa_group_segment_fixed_size 28560
		.amdhsa_private_segment_fixed_size 0
		.amdhsa_kernarg_size 104
		.amdhsa_user_sgpr_count 6
		.amdhsa_user_sgpr_private_segment_buffer 1
		.amdhsa_user_sgpr_dispatch_ptr 0
		.amdhsa_user_sgpr_queue_ptr 0
		.amdhsa_user_sgpr_kernarg_segment_ptr 1
		.amdhsa_user_sgpr_dispatch_id 0
		.amdhsa_user_sgpr_flat_scratch_init 0
		.amdhsa_user_sgpr_private_segment_size 0
		.amdhsa_wavefront_size32 1
		.amdhsa_uses_dynamic_stack 0
		.amdhsa_system_sgpr_private_segment_wavefront_offset 0
		.amdhsa_system_sgpr_workgroup_id_x 1
		.amdhsa_system_sgpr_workgroup_id_y 0
		.amdhsa_system_sgpr_workgroup_id_z 0
		.amdhsa_system_sgpr_workgroup_info 0
		.amdhsa_system_vgpr_workitem_id 0
		.amdhsa_next_free_vgpr 251
		.amdhsa_next_free_sgpr 16
		.amdhsa_reserve_vcc 1
		.amdhsa_reserve_flat_scratch 0
		.amdhsa_float_round_mode_32 0
		.amdhsa_float_round_mode_16_64 0
		.amdhsa_float_denorm_mode_32 3
		.amdhsa_float_denorm_mode_16_64 3
		.amdhsa_dx10_clamp 1
		.amdhsa_ieee_mode 1
		.amdhsa_fp16_overflow 0
		.amdhsa_workgroup_processor_mode 1
		.amdhsa_memory_ordered 1
		.amdhsa_forward_progress 0
		.amdhsa_shared_vgpr_count 0
		.amdhsa_exception_fp_ieee_invalid_op 0
		.amdhsa_exception_fp_denorm_src 0
		.amdhsa_exception_fp_ieee_div_zero 0
		.amdhsa_exception_fp_ieee_overflow 0
		.amdhsa_exception_fp_ieee_underflow 0
		.amdhsa_exception_fp_ieee_inexact 0
		.amdhsa_exception_int_div_zero 0
	.end_amdhsa_kernel
	.text
.Lfunc_end0:
	.size	bluestein_single_fwd_len1190_dim1_sp_op_CI_CI, .Lfunc_end0-bluestein_single_fwd_len1190_dim1_sp_op_CI_CI
                                        ; -- End function
	.section	.AMDGPU.csdata,"",@progbits
; Kernel info:
; codeLenInByte = 22128
; NumSgprs: 18
; NumVgprs: 251
; ScratchSize: 0
; MemoryBound: 0
; FloatMode: 240
; IeeeMode: 1
; LDSByteSize: 28560 bytes/workgroup (compile time only)
; SGPRBlocks: 2
; VGPRBlocks: 31
; NumSGPRsForWavesPerEU: 18
; NumVGPRsForWavesPerEU: 251
; Occupancy: 4
; WaveLimiterHint : 1
; COMPUTE_PGM_RSRC2:SCRATCH_EN: 0
; COMPUTE_PGM_RSRC2:USER_SGPR: 6
; COMPUTE_PGM_RSRC2:TRAP_HANDLER: 0
; COMPUTE_PGM_RSRC2:TGID_X_EN: 1
; COMPUTE_PGM_RSRC2:TGID_Y_EN: 0
; COMPUTE_PGM_RSRC2:TGID_Z_EN: 0
; COMPUTE_PGM_RSRC2:TIDIG_COMP_CNT: 0
	.text
	.p2alignl 6, 3214868480
	.fill 48, 4, 3214868480
	.type	__hip_cuid_74eb1ac6eaa41b0,@object ; @__hip_cuid_74eb1ac6eaa41b0
	.section	.bss,"aw",@nobits
	.globl	__hip_cuid_74eb1ac6eaa41b0
__hip_cuid_74eb1ac6eaa41b0:
	.byte	0                               ; 0x0
	.size	__hip_cuid_74eb1ac6eaa41b0, 1

	.ident	"AMD clang version 19.0.0git (https://github.com/RadeonOpenCompute/llvm-project roc-6.4.0 25133 c7fe45cf4b819c5991fe208aaa96edf142730f1d)"
	.section	".note.GNU-stack","",@progbits
	.addrsig
	.addrsig_sym __hip_cuid_74eb1ac6eaa41b0
	.amdgpu_metadata
---
amdhsa.kernels:
  - .args:
      - .actual_access:  read_only
        .address_space:  global
        .offset:         0
        .size:           8
        .value_kind:     global_buffer
      - .actual_access:  read_only
        .address_space:  global
        .offset:         8
        .size:           8
        .value_kind:     global_buffer
      - .actual_access:  read_only
        .address_space:  global
        .offset:         16
        .size:           8
        .value_kind:     global_buffer
      - .actual_access:  read_only
        .address_space:  global
        .offset:         24
        .size:           8
        .value_kind:     global_buffer
      - .actual_access:  read_only
        .address_space:  global
        .offset:         32
        .size:           8
        .value_kind:     global_buffer
      - .offset:         40
        .size:           8
        .value_kind:     by_value
      - .address_space:  global
        .offset:         48
        .size:           8
        .value_kind:     global_buffer
      - .address_space:  global
        .offset:         56
        .size:           8
        .value_kind:     global_buffer
      - .address_space:  global
        .offset:         64
        .size:           8
        .value_kind:     global_buffer
      - .address_space:  global
        .offset:         72
        .size:           8
        .value_kind:     global_buffer
      - .offset:         80
        .size:           4
        .value_kind:     by_value
      - .address_space:  global
        .offset:         88
        .size:           8
        .value_kind:     global_buffer
      - .address_space:  global
        .offset:         96
        .size:           8
        .value_kind:     global_buffer
    .group_segment_fixed_size: 28560
    .kernarg_segment_align: 8
    .kernarg_segment_size: 104
    .language:       OpenCL C
    .language_version:
      - 2
      - 0
    .max_flat_workgroup_size: 255
    .name:           bluestein_single_fwd_len1190_dim1_sp_op_CI_CI
    .private_segment_fixed_size: 0
    .sgpr_count:     18
    .sgpr_spill_count: 0
    .symbol:         bluestein_single_fwd_len1190_dim1_sp_op_CI_CI.kd
    .uniform_work_group_size: 1
    .uses_dynamic_stack: false
    .vgpr_count:     251
    .vgpr_spill_count: 0
    .wavefront_size: 32
    .workgroup_processor_mode: 1
amdhsa.target:   amdgcn-amd-amdhsa--gfx1030
amdhsa.version:
  - 1
  - 2
...

	.end_amdgpu_metadata
